;; amdgpu-corpus repo=ROCm/rocFFT kind=compiled arch=gfx950 opt=O3
	.text
	.amdgcn_target "amdgcn-amd-amdhsa--gfx950"
	.amdhsa_code_object_version 6
	.protected	fft_rtc_fwd_len867_factors_17_17_3_wgs_51_tpt_51_halfLds_sp_ip_CI_unitstride_sbrr_dirReg ; -- Begin function fft_rtc_fwd_len867_factors_17_17_3_wgs_51_tpt_51_halfLds_sp_ip_CI_unitstride_sbrr_dirReg
	.globl	fft_rtc_fwd_len867_factors_17_17_3_wgs_51_tpt_51_halfLds_sp_ip_CI_unitstride_sbrr_dirReg
	.p2align	8
	.type	fft_rtc_fwd_len867_factors_17_17_3_wgs_51_tpt_51_halfLds_sp_ip_CI_unitstride_sbrr_dirReg,@function
fft_rtc_fwd_len867_factors_17_17_3_wgs_51_tpt_51_halfLds_sp_ip_CI_unitstride_sbrr_dirReg: ; @fft_rtc_fwd_len867_factors_17_17_3_wgs_51_tpt_51_halfLds_sp_ip_CI_unitstride_sbrr_dirReg
; %bb.0:
	s_load_dwordx2 s[8:9], s[0:1], 0x50
	s_load_dwordx4 s[4:7], s[0:1], 0x0
	s_load_dwordx2 s[10:11], s[0:1], 0x18
	v_mul_u32_u24_e32 v1, 0x506, v0
	v_add_u32_sdwa v6, s2, v1 dst_sel:DWORD dst_unused:UNUSED_PAD src0_sel:DWORD src1_sel:WORD_1
	v_mov_b32_e32 v4, 0
	s_waitcnt lgkmcnt(0)
	v_cmp_lt_u64_e64 s[2:3], s[6:7], 2
	v_mov_b32_e32 v7, v4
	s_and_b64 vcc, exec, s[2:3]
	v_mov_b64_e32 v[2:3], 0
	s_cbranch_vccnz .LBB0_8
; %bb.1:
	s_load_dwordx2 s[2:3], s[0:1], 0x10
	s_add_u32 s12, s10, 8
	s_addc_u32 s13, s11, 0
	s_mov_b64 s[14:15], 1
	v_mov_b64_e32 v[2:3], 0
	s_waitcnt lgkmcnt(0)
	s_add_u32 s16, s2, 8
	s_addc_u32 s17, s3, 0
.LBB0_2:                                ; =>This Inner Loop Header: Depth=1
	s_load_dwordx2 s[18:19], s[16:17], 0x0
                                        ; implicit-def: $vgpr8_vgpr9
	s_waitcnt lgkmcnt(0)
	v_or_b32_e32 v5, s19, v7
	v_cmp_ne_u64_e32 vcc, 0, v[4:5]
	s_and_saveexec_b64 s[2:3], vcc
	s_xor_b64 s[20:21], exec, s[2:3]
	s_cbranch_execz .LBB0_4
; %bb.3:                                ;   in Loop: Header=BB0_2 Depth=1
	v_cvt_f32_u32_e32 v1, s18
	v_cvt_f32_u32_e32 v5, s19
	s_sub_u32 s2, 0, s18
	s_subb_u32 s3, 0, s19
	v_fmac_f32_e32 v1, 0x4f800000, v5
	v_rcp_f32_e32 v1, v1
	s_nop 0
	v_mul_f32_e32 v1, 0x5f7ffffc, v1
	v_mul_f32_e32 v5, 0x2f800000, v1
	v_trunc_f32_e32 v5, v5
	v_fmac_f32_e32 v1, 0xcf800000, v5
	v_cvt_u32_f32_e32 v5, v5
	v_cvt_u32_f32_e32 v1, v1
	v_mul_lo_u32 v8, s2, v5
	v_mul_hi_u32 v10, s2, v1
	v_mul_lo_u32 v9, s3, v1
	v_add_u32_e32 v10, v10, v8
	v_mul_lo_u32 v12, s2, v1
	v_add_u32_e32 v13, v10, v9
	v_mul_hi_u32 v8, v1, v12
	v_mul_hi_u32 v11, v1, v13
	v_mul_lo_u32 v10, v1, v13
	v_mov_b32_e32 v9, v4
	v_lshl_add_u64 v[8:9], v[8:9], 0, v[10:11]
	v_mul_hi_u32 v11, v5, v12
	v_mul_lo_u32 v12, v5, v12
	v_add_co_u32_e32 v8, vcc, v8, v12
	v_mul_hi_u32 v10, v5, v13
	s_nop 0
	v_addc_co_u32_e32 v8, vcc, v9, v11, vcc
	v_mov_b32_e32 v9, v4
	s_nop 0
	v_addc_co_u32_e32 v11, vcc, 0, v10, vcc
	v_mul_lo_u32 v10, v5, v13
	v_lshl_add_u64 v[8:9], v[8:9], 0, v[10:11]
	v_add_co_u32_e32 v1, vcc, v1, v8
	v_mul_lo_u32 v10, s2, v1
	s_nop 0
	v_addc_co_u32_e32 v5, vcc, v5, v9, vcc
	v_mul_lo_u32 v8, s2, v5
	v_mul_hi_u32 v9, s2, v1
	v_add_u32_e32 v8, v9, v8
	v_mul_lo_u32 v9, s3, v1
	v_add_u32_e32 v12, v8, v9
	v_mul_hi_u32 v14, v5, v10
	v_mul_lo_u32 v15, v5, v10
	v_mul_hi_u32 v9, v1, v12
	v_mul_lo_u32 v8, v1, v12
	v_mul_hi_u32 v10, v1, v10
	v_mov_b32_e32 v11, v4
	v_lshl_add_u64 v[8:9], v[10:11], 0, v[8:9]
	v_add_co_u32_e32 v8, vcc, v8, v15
	v_mul_hi_u32 v13, v5, v12
	s_nop 0
	v_addc_co_u32_e32 v8, vcc, v9, v14, vcc
	v_mul_lo_u32 v10, v5, v12
	s_nop 0
	v_addc_co_u32_e32 v11, vcc, 0, v13, vcc
	v_mov_b32_e32 v9, v4
	v_lshl_add_u64 v[8:9], v[8:9], 0, v[10:11]
	v_add_co_u32_e32 v1, vcc, v1, v8
	v_mul_hi_u32 v10, v6, v1
	s_nop 0
	v_addc_co_u32_e32 v5, vcc, v5, v9, vcc
	v_mad_u64_u32 v[8:9], s[2:3], v6, v5, 0
	v_mov_b32_e32 v11, v4
	v_lshl_add_u64 v[8:9], v[10:11], 0, v[8:9]
	v_mad_u64_u32 v[12:13], s[2:3], v7, v1, 0
	v_add_co_u32_e32 v1, vcc, v8, v12
	v_mad_u64_u32 v[10:11], s[2:3], v7, v5, 0
	s_nop 0
	v_addc_co_u32_e32 v8, vcc, v9, v13, vcc
	v_mov_b32_e32 v9, v4
	s_nop 0
	v_addc_co_u32_e32 v11, vcc, 0, v11, vcc
	v_lshl_add_u64 v[8:9], v[8:9], 0, v[10:11]
	v_mul_lo_u32 v1, s19, v8
	v_mul_lo_u32 v5, s18, v9
	v_mad_u64_u32 v[10:11], s[2:3], s18, v8, 0
	v_add3_u32 v1, v11, v5, v1
	v_sub_u32_e32 v5, v7, v1
	v_mov_b32_e32 v11, s19
	v_sub_co_u32_e32 v14, vcc, v6, v10
	v_lshl_add_u64 v[12:13], v[8:9], 0, 1
	s_nop 0
	v_subb_co_u32_e64 v5, s[2:3], v5, v11, vcc
	v_subrev_co_u32_e64 v10, s[2:3], s18, v14
	v_subb_co_u32_e32 v1, vcc, v7, v1, vcc
	s_nop 0
	v_subbrev_co_u32_e64 v5, s[2:3], 0, v5, s[2:3]
	v_cmp_le_u32_e64 s[2:3], s19, v5
	v_cmp_le_u32_e32 vcc, s19, v1
	s_nop 0
	v_cndmask_b32_e64 v11, 0, -1, s[2:3]
	v_cmp_le_u32_e64 s[2:3], s18, v10
	s_nop 1
	v_cndmask_b32_e64 v10, 0, -1, s[2:3]
	v_cmp_eq_u32_e64 s[2:3], s19, v5
	s_nop 1
	v_cndmask_b32_e64 v5, v11, v10, s[2:3]
	v_lshl_add_u64 v[10:11], v[8:9], 0, 2
	v_cmp_ne_u32_e64 s[2:3], 0, v5
	s_nop 1
	v_cndmask_b32_e64 v5, v13, v11, s[2:3]
	v_cndmask_b32_e64 v11, 0, -1, vcc
	v_cmp_le_u32_e32 vcc, s18, v14
	s_nop 1
	v_cndmask_b32_e64 v13, 0, -1, vcc
	v_cmp_eq_u32_e32 vcc, s19, v1
	s_nop 1
	v_cndmask_b32_e32 v1, v11, v13, vcc
	v_cmp_ne_u32_e32 vcc, 0, v1
	v_cndmask_b32_e64 v1, v12, v10, s[2:3]
	s_nop 0
	v_cndmask_b32_e32 v9, v9, v5, vcc
	v_cndmask_b32_e32 v8, v8, v1, vcc
.LBB0_4:                                ;   in Loop: Header=BB0_2 Depth=1
	s_andn2_saveexec_b64 s[2:3], s[20:21]
	s_cbranch_execz .LBB0_6
; %bb.5:                                ;   in Loop: Header=BB0_2 Depth=1
	v_cvt_f32_u32_e32 v1, s18
	s_sub_i32 s20, 0, s18
	v_rcp_iflag_f32_e32 v1, v1
	s_nop 0
	v_mul_f32_e32 v1, 0x4f7ffffe, v1
	v_cvt_u32_f32_e32 v1, v1
	v_mul_lo_u32 v5, s20, v1
	v_mul_hi_u32 v5, v1, v5
	v_add_u32_e32 v1, v1, v5
	v_mul_hi_u32 v1, v6, v1
	v_mul_lo_u32 v5, v1, s18
	v_sub_u32_e32 v5, v6, v5
	v_add_u32_e32 v8, 1, v1
	v_subrev_u32_e32 v9, s18, v5
	v_cmp_le_u32_e32 vcc, s18, v5
	s_nop 1
	v_cndmask_b32_e32 v5, v5, v9, vcc
	v_cndmask_b32_e32 v1, v1, v8, vcc
	v_add_u32_e32 v8, 1, v1
	v_cmp_le_u32_e32 vcc, s18, v5
	v_mov_b32_e32 v9, v4
	s_nop 0
	v_cndmask_b32_e32 v8, v1, v8, vcc
.LBB0_6:                                ;   in Loop: Header=BB0_2 Depth=1
	s_or_b64 exec, exec, s[2:3]
	v_mad_u64_u32 v[10:11], s[2:3], v8, s18, 0
	s_load_dwordx2 s[2:3], s[12:13], 0x0
	v_mul_lo_u32 v1, v9, s18
	v_mul_lo_u32 v5, v8, s19
	v_add3_u32 v1, v11, v5, v1
	v_sub_co_u32_e32 v5, vcc, v6, v10
	s_add_u32 s14, s14, 1
	s_nop 0
	v_subb_co_u32_e32 v1, vcc, v7, v1, vcc
	s_addc_u32 s15, s15, 0
	s_waitcnt lgkmcnt(0)
	v_mul_lo_u32 v1, s2, v1
	v_mul_lo_u32 v6, s3, v5
	v_mad_u64_u32 v[2:3], s[2:3], s2, v5, v[2:3]
	s_add_u32 s12, s12, 8
	v_add3_u32 v3, v6, v3, v1
	s_addc_u32 s13, s13, 0
	v_mov_b64_e32 v[6:7], s[6:7]
	s_add_u32 s16, s16, 8
	v_cmp_ge_u64_e32 vcc, s[14:15], v[6:7]
	s_addc_u32 s17, s17, 0
	s_cbranch_vccnz .LBB0_9
; %bb.7:                                ;   in Loop: Header=BB0_2 Depth=1
	v_mov_b64_e32 v[6:7], v[8:9]
	s_branch .LBB0_2
.LBB0_8:
	v_mov_b64_e32 v[8:9], v[6:7]
.LBB0_9:
	s_lshl_b64 s[2:3], s[6:7], 3
	s_add_u32 s2, s10, s2
	s_addc_u32 s3, s11, s3
	s_load_dwordx2 s[6:7], s[2:3], 0x0
	s_load_dwordx2 s[10:11], s[0:1], 0x20
	s_mov_b32 s2, 0x5050506
                                        ; implicit-def: $vgpr38
                                        ; implicit-def: $vgpr68
                                        ; implicit-def: $vgpr70
                                        ; implicit-def: $vgpr72
                                        ; implicit-def: $vgpr40
                                        ; implicit-def: $vgpr42
                                        ; implicit-def: $vgpr18
                                        ; implicit-def: $vgpr22
                                        ; implicit-def: $vgpr6
                                        ; implicit-def: $vgpr10
                                        ; implicit-def: $vgpr12
                                        ; implicit-def: $vgpr14
                                        ; implicit-def: $vgpr16
                                        ; implicit-def: $vgpr20
                                        ; implicit-def: $vgpr24
	s_waitcnt lgkmcnt(0)
	v_mul_lo_u32 v1, s6, v9
	v_mul_lo_u32 v4, s7, v8
	v_mad_u64_u32 v[2:3], s[0:1], s6, v8, v[2:3]
	v_add3_u32 v3, v4, v3, v1
	v_mul_hi_u32 v1, v0, s2
	v_mul_u32_u24_e32 v1, 51, v1
	v_cmp_gt_u64_e64 s[0:1], s[10:11], v[8:9]
	v_sub_u32_e32 v0, v0, v1
	v_mov_b64_e32 v[4:5], 0
	v_lshl_add_u64 v[2:3], v[2:3], 3, s[8:9]
                                        ; implicit-def: $vgpr8
	s_and_saveexec_b64 s[2:3], s[0:1]
	s_cbranch_execz .LBB0_11
; %bb.10:
	v_mov_b32_e32 v1, 0
	v_lshl_add_u64 v[26:27], v[0:1], 3, v[2:3]
	v_add_co_u32_e32 v28, vcc, 0x1000, v26
	global_load_dwordx2 v[4:5], v[26:27], off
	global_load_dwordx2 v[38:39], v[26:27], off offset:408
	global_load_dwordx2 v[68:69], v[26:27], off offset:816
	;; [unrolled: 1-line block ×7, first 2 shown]
	v_addc_co_u32_e32 v29, vcc, 0, v27, vcc
	global_load_dwordx2 v[22:23], v[26:27], off offset:3264
	global_load_dwordx2 v[24:25], v[26:27], off offset:3672
	;; [unrolled: 1-line block ×9, first 2 shown]
.LBB0_11:
	s_or_b64 exec, exec, s[2:3]
	s_waitcnt vmcnt(15)
	v_add_f32_e32 v1, v38, v4
	s_waitcnt vmcnt(14)
	v_add_f32_e32 v1, v68, v1
	;; [unrolled: 2-line block ×5, first 2 shown]
	s_mov_b32 s9, 0xbf59a7d5
	s_mov_b32 s16, 0x3f2c7751
	;; [unrolled: 1-line block ×3, first 2 shown]
	s_waitcnt vmcnt(10)
	v_mov_b32_e32 v46, v42
	v_mov_b32_e32 v47, v38
	s_waitcnt vmcnt(0)
	v_mov_b32_e32 v45, v6
	s_mov_b32 s2, 0x3ee437d1
	s_mov_b32 s17, 0xbf06c442
	;; [unrolled: 1-line block ×4, first 2 shown]
	v_pk_add_f32 v[62:63], v[46:47], v[44:45]
	s_mov_b32 s38, s14
	s_mov_b32 s39, s9
	v_pk_add_f32 v[32:33], v[38:39], v[6:7] neg_lo:[0,1] neg_hi:[0,1]
	v_pk_add_f32 v[26:27], v[68:69], v[8:9]
	s_mov_b32 s11, 0x3f6eb680
	s_mov_b32 s3, 0xbf65296c
	;; [unrolled: 1-line block ×10, first 2 shown]
	v_pk_mul_f32 v[74:75], v[62:63], s[38:39] op_sel:[1,0]
	s_mov_b32 s21, 0xbeb8f4ab
	v_pk_add_f32 v[34:35], v[68:69], v[8:9] neg_lo:[0,1] neg_hi:[0,1]
	v_pk_add_f32 v[28:29], v[70:71], v[10:11]
	s_mov_b32 s7, 0xbf7ee86f
	v_pk_mul_f32 v[80:81], v[26:27], s[34:35] op_sel_hi:[0,1]
	s_mov_b32 s76, s23
	s_mov_b32 s77, s18
	;; [unrolled: 1-line block ×4, first 2 shown]
	v_pk_fma_f32 v[46:47], v[32:33], s[70:71], v[74:75] op_sel:[1,0,0]
	v_pk_add_f32 v[36:37], v[70:71], v[10:11] neg_lo:[0,1] neg_hi:[0,1]
	v_pk_add_f32 v[30:31], v[72:73], v[12:13]
	v_pk_mul_f32 v[82:83], v[28:29], s[36:37] op_sel_hi:[0,1]
	s_mov_b32 s72, s21
	s_mov_b32 s73, s7
	v_pk_fma_f32 v[44:45], v[34:35], s[76:77], v[80:81] op_sel:[1,0,0]
	v_pk_add_f32 v[46:47], v[46:47], v[4:5] op_sel_hi:[1,0]
	s_mov_b32 s66, 0x3f4c4adb
	s_mov_b32 s40, s9
	;; [unrolled: 1-line block ×3, first 2 shown]
	v_pk_add_f32 v[44:45], v[44:45], v[46:47]
	v_pk_fma_f32 v[46:47], v[36:37], s[72:73], v[82:83] op_sel:[1,0,0]
	v_pk_add_f32 v[54:55], v[72:73], v[12:13] neg_lo:[0,1] neg_hi:[0,1]
	s_mov_b32 s96, s17
	s_mov_b32 s97, s66
	v_pk_mul_f32 v[84:85], v[30:31], s[40:41] op_sel_hi:[0,1]
	v_pk_add_f32 v[44:45], v[46:47], v[44:45]
	v_pk_fma_f32 v[46:47], v[54:55], s[96:97], v[84:85] op_sel:[1,0,0]
	s_mov_b32 s69, 0x3f7ee86f
	v_pk_add_f32 v[46:47], v[46:47], v[44:45]
	s_mov_b32 s42, s6
	s_mov_b32 s43, s11
	v_pk_add_f32 v[44:45], v[40:41], v[14:15]
	s_mov_b32 s90, s69
	s_mov_b32 s91, s21
	v_pk_add_f32 v[56:57], v[40:41], v[14:15] neg_lo:[0,1] neg_hi:[0,1]
	v_pk_mul_f32 v[86:87], v[44:45], s[42:43] op_sel_hi:[0,1]
	v_pk_fma_f32 v[48:49], v[56:57], s[90:91], v[86:87] op_sel:[1,0,0]
	s_mov_b32 s26, 0xbf7ba420
	s_mov_b32 s24, 0x3f3d2fb0
	v_pk_add_f32 v[48:49], v[48:49], v[46:47]
	s_mov_b32 s27, 0xbe3c28d5
	s_mov_b32 s25, 0xbf2c7751
	;; [unrolled: 1-line block ×4, first 2 shown]
	v_pk_add_f32 v[46:47], v[42:43], v[16:17]
	s_mov_b32 s80, s25
	s_mov_b32 s81, s27
	v_pk_add_f32 v[58:59], v[42:43], v[16:17] neg_lo:[0,1] neg_hi:[0,1]
	v_pk_mul_f32 v[88:89], v[46:47], s[44:45] op_sel_hi:[0,1]
	v_pk_fma_f32 v[50:51], v[58:59], s[80:81], v[88:89] op_sel:[1,0,0]
	s_mov_b32 s46, s26
	v_pk_add_f32 v[50:51], v[50:51], v[48:49]
	s_mov_b32 s47, s24
	v_pk_add_f32 v[48:49], v[18:19], v[20:21]
	s_mov_b32 s86, s27
	s_mov_b32 s87, s16
	v_pk_add_f32 v[60:61], v[18:19], v[20:21] neg_lo:[0,1] neg_hi:[0,1]
	v_pk_mul_f32 v[90:91], v[48:49], s[46:47] op_sel_hi:[0,1]
	v_pk_fma_f32 v[52:53], v[60:61], s[86:87], v[90:91] op_sel:[1,0,0]
	s_mov_b32 s48, s2
	v_pk_add_f32 v[64:65], v[52:53], v[50:51]
	s_mov_b32 s49, s12
	v_pk_add_f32 v[50:51], v[22:23], v[24:25]
	s_mov_b32 s92, s18
	s_mov_b32 s93, s13
	v_pk_add_f32 v[52:53], v[22:23], v[24:25] neg_lo:[0,1] neg_hi:[0,1]
	v_pk_mul_f32 v[92:93], v[50:51], s[48:49] op_sel_hi:[0,1]
	v_pk_fma_f32 v[66:67], v[52:53], s[92:93], v[92:93] op_sel:[1,0,0]
	s_movk_i32 s8, 0x44
	v_pk_add_f32 v[64:65], v[66:67], v[64:65]
	v_mad_u32_u24 v1, v0, s8, 0
	s_mov_b32 s52, s6
	s_mov_b32 s53, s12
	ds_write2_b32 v1, v65, v64 offset0:10 offset1:11
	s_mov_b32 s30, 0x3f06c442
	s_mov_b32 s78, s7
	;; [unrolled: 1-line block ×5, first 2 shown]
	v_pk_mul_f32 v[64:65], v[62:63], s[52:53] op_sel:[1,0]
	s_mov_b32 s74, s27
	s_mov_b32 s75, s30
	v_pk_fma_f32 v[66:67], v[32:33], s[78:79], v[64:65] op_sel:[1,0,0]
	v_pk_mul_f32 v[94:95], v[26:27], s[50:51] op_sel_hi:[0,1]
	s_mov_b32 s54, s12
	s_mov_b32 s55, s24
	v_pk_add_f32 v[66:67], v[66:67], v[4:5] op_sel_hi:[1,0]
	v_pk_fma_f32 v[76:77], v[34:35], s[74:75], v[94:95] op_sel:[1,0,0]
	s_mov_b32 s94, s23
	s_mov_b32 s95, s16
	v_pk_mul_f32 v[104:105], v[28:29], s[54:55] op_sel_hi:[0,1]
	s_mov_b32 s28, 0x3eb8f4ab
	s_mov_b32 s56, s11
	;; [unrolled: 1-line block ×3, first 2 shown]
	v_pk_add_f32 v[66:67], v[76:77], v[66:67]
	v_pk_fma_f32 v[76:77], v[36:37], s[94:95], v[104:105] op_sel:[1,0,0]
	s_mov_b32 s88, s28
	s_mov_b32 s89, s3
	v_pk_mul_f32 v[96:97], v[30:31], s[56:57] op_sel_hi:[0,1]
	s_mov_b32 s58, s2
	s_mov_b32 s59, s26
	v_pk_add_f32 v[66:67], v[76:77], v[66:67]
	v_pk_fma_f32 v[76:77], v[54:55], s[88:89], v[96:97] op_sel:[1,0,0]
	s_mov_b32 s82, s3
	s_mov_b32 s83, s27
	v_pk_mul_f32 v[98:99], v[44:45], s[58:59] op_sel_hi:[0,1]
	s_mov_b32 s60, s9
	s_mov_b32 s61, s6
	v_pk_add_f32 v[66:67], v[76:77], v[66:67]
	v_pk_fma_f32 v[76:77], v[56:57], s[82:83], v[98:99] op_sel:[1,0,0]
	s_mov_b32 s68, s17
	v_pk_mul_f32 v[100:101], v[46:47], s[60:61] op_sel_hi:[0,1]
	s_mov_b32 s62, s14
	s_mov_b32 s63, s11
	v_pk_add_f32 v[66:67], v[76:77], v[66:67]
	v_pk_fma_f32 v[76:77], v[58:59], s[68:69], v[100:101] op_sel:[1,0,0]
	;; [unrolled: 6-line block ×3, first 2 shown]
	s_mov_b32 s84, s16
	s_mov_b32 s85, s15
	v_pk_mul_f32 v[108:109], v[50:51], s[64:65] op_sel_hi:[0,1]
	v_pk_add_f32 v[66:67], v[76:77], v[66:67]
	v_pk_fma_f32 v[76:77], v[52:53], s[84:85], v[108:109] op_sel:[1,0,0]
	s_mov_b32 s8, s24
	v_pk_add_f32 v[66:67], v[76:77], v[66:67]
	v_mov_b32_e32 v76, v54
	v_mov_b32_e32 v77, v36
	ds_write2_b32 v1, v67, v66 offset0:12 offset1:13
	v_mov_b32_e32 v66, v31
	v_mov_b32_e32 v67, v29
	v_pk_mul_f32 v[76:77], v[76:77], s[16:17]
	v_pk_fma_f32 v[116:117], v[36:37], s[72:73], v[82:83] op_sel:[1,0,0] neg_lo:[1,0,0] neg_hi:[1,0,0]
	v_pk_mul_f32 v[82:83], v[36:37], s[72:73] op_sel_hi:[0,1]
	s_mov_b32 s72, s24
	s_mov_b32 s73, s2
	v_pk_fma_f32 v[78:79], v[66:67], s[8:9], v[76:77]
	v_pk_fma_f32 v[76:77], v[66:67], s[8:9], v[76:77] neg_lo:[0,0,1] neg_hi:[0,0,1]
	v_pk_fma_f32 v[110:111], v[34:35], s[74:75], v[94:95] op_sel:[1,0,0] neg_lo:[1,0,0] neg_hi:[1,0,0]
	v_pk_mul_f32 v[66:67], v[34:35], s[74:75] op_sel_hi:[0,1]
	s_mov_b32 s74, s25
	s_mov_b32 s75, s3
	v_pk_fma_f32 v[112:113], v[32:33], s[70:71], v[74:75] op_sel:[1,0,0] neg_lo:[1,0,0] neg_hi:[1,0,0]
	v_pk_mul_f32 v[74:75], v[32:33], s[70:71] op_sel_hi:[0,1]
	s_mov_b32 s70, s6
	s_mov_b32 s71, s14
	v_pk_mul_f32 v[122:123], v[62:63], s[72:73] op_sel:[1,0]
	v_pk_fma_f32 v[106:107], v[32:33], s[78:79], v[64:65] op_sel:[1,0,0] neg_lo:[1,0,0] neg_hi:[1,0,0]
	v_pk_mul_f32 v[64:65], v[32:33], s[78:79] op_sel_hi:[0,1]
	v_pk_fma_f32 v[114:115], v[34:35], s[76:77], v[80:81] op_sel:[1,0,0] neg_lo:[1,0,0] neg_hi:[1,0,0]
	v_pk_mul_f32 v[80:81], v[34:35], s[76:77] op_sel_hi:[0,1]
	s_mov_b32 s79, s15
	v_pk_fma_f32 v[94:95], v[32:33], s[74:75], v[122:123] op_sel:[1,0,0]
	v_pk_mul_f32 v[124:125], v[26:27], s[70:71] op_sel_hi:[0,1]
	s_mov_b32 s76, s14
	s_mov_b32 s77, s26
	v_pk_add_f32 v[94:95], v[94:95], v[4:5] op_sel_hi:[1,0]
	v_pk_fma_f32 v[118:119], v[34:35], s[78:79], v[124:125] op_sel:[1,0,0]
	v_pk_fma_f32 v[120:121], v[56:57], s[90:91], v[86:87] op_sel:[1,0,0] neg_lo:[1,0,0] neg_hi:[1,0,0]
	v_pk_mul_f32 v[86:87], v[56:57], s[90:91] op_sel_hi:[0,1]
	s_mov_b32 s91, 0x3e3c28d5
	s_mov_b32 s90, s15
	v_pk_mul_f32 v[128:129], v[28:29], s[76:77] op_sel_hi:[0,1]
	v_pk_add_f32 v[94:95], v[118:119], v[94:95]
	v_pk_fma_f32 v[126:127], v[36:37], s[90:91], v[128:129] op_sel:[1,0,0]
	s_mov_b32 s22, s27
	v_pk_add_f32 v[94:95], v[126:127], v[94:95]
	v_pk_fma_f32 v[126:127], v[58:59], s[80:81], v[88:89] op_sel:[1,0,0] neg_lo:[1,0,0] neg_hi:[1,0,0]
	v_pk_mul_f32 v[88:89], v[58:59], s[80:81] op_sel_hi:[0,1]
	s_mov_b32 s80, s26
	s_mov_b32 s81, s12
	v_pk_mul_f32 v[130:131], v[30:31], s[80:81] op_sel_hi:[0,1]
	v_pk_fma_f32 v[132:133], v[54:55], s[22:23], v[130:131] op_sel:[1,0,0]
	s_mov_b32 s31, s16
	v_pk_add_f32 v[94:95], v[132:133], v[94:95]
	v_pk_fma_f32 v[132:133], v[60:61], s[86:87], v[90:91] op_sel:[1,0,0] neg_lo:[1,0,0] neg_hi:[1,0,0]
	v_pk_mul_f32 v[90:91], v[60:61], s[86:87] op_sel_hi:[0,1]
	s_mov_b32 s86, s9
	s_mov_b32 s87, s24
	v_pk_mul_f32 v[134:135], v[44:45], s[86:87] op_sel_hi:[0,1]
	v_pk_fma_f32 v[136:137], v[56:57], s[30:31], v[134:135] op_sel:[1,0,0]
	s_mov_b32 s10, s12
	v_pk_add_f32 v[94:95], v[136:137], v[94:95]
	s_mov_b32 s20, s23
	v_pk_mul_f32 v[136:137], v[46:47], s[10:11] op_sel_hi:[0,1]
	v_pk_fma_f32 v[138:139], v[58:59], s[20:21], v[136:137] op_sel:[1,0,0]
	v_pk_add_f32 v[106:107], v[106:107], v[4:5] op_sel_hi:[1,0]
	v_pk_add_f32 v[138:139], v[138:139], v[94:95]
	v_mov_b32_e32 v94, v58
	v_mov_b32_e32 v95, v56
	s_mov_b32 s19, s15
	v_pk_fma_f32 v[150:151], v[52:53], s[92:93], v[92:93] op_sel:[1,0,0] neg_lo:[1,0,0] neg_hi:[1,0,0]
	v_pk_mul_f32 v[92:93], v[52:53], s[92:93] op_sel_hi:[0,1]
	s_mov_b32 s92, s2
	s_mov_b32 s93, s6
	v_pk_fma_f32 v[104:105], v[36:37], s[94:95], v[104:105] op_sel:[1,0,0] neg_lo:[1,0,0] neg_hi:[1,0,0]
	v_pk_add_f32 v[106:107], v[110:111], v[106:107]
	v_pk_mul_f32 v[94:95], v[94:95], s[18:19]
	s_mov_b32 s19, s7
	v_pk_mul_f32 v[152:153], v[48:49], s[92:93] op_sel_hi:[0,1]
	s_mov_b32 s8, s11
	v_add_f32_e32 v38, v39, v5
	v_pk_add_f32 v[104:105], v[104:105], v[106:107]
	v_pk_fma_f32 v[96:97], v[54:55], s[88:89], v[96:97] op_sel:[1,0,0] neg_lo:[1,0,0] neg_hi:[1,0,0]
	v_pk_fma_f32 v[140:141], v[60:61], s[18:19], v[152:153] op_sel:[1,0,0]
	s_mov_b32 s29, s17
	v_pk_mul_f32 v[154:155], v[50:51], s[8:9] op_sel_hi:[0,1]
	v_add_f32_e32 v38, v69, v38
	v_mov_b32_e32 v68, v26
	v_mov_b32_e32 v69, v35
	v_pk_add_f32 v[96:97], v[96:97], v[104:105]
	v_pk_fma_f32 v[98:99], v[56:57], s[82:83], v[98:99] op_sel:[1,0,0] neg_lo:[1,0,0] neg_hi:[1,0,0]
	v_pk_add_f32 v[138:139], v[140:141], v[138:139]
	v_pk_fma_f32 v[140:141], v[52:53], s[28:29], v[154:155] op_sel:[1,0,0]
	v_add_f32_e32 v38, v71, v38
	v_pk_mul_f32 v[70:71], v[68:69], s[24:25]
	v_pk_add_f32 v[96:97], v[98:99], v[96:97]
	v_pk_fma_f32 v[98:99], v[58:59], s[68:69], v[100:101] op_sel:[1,0,0] neg_lo:[1,0,0] neg_hi:[1,0,0]
	v_pk_add_f32 v[138:139], v[140:141], v[138:139]
	v_add_f32_e32 v40, v73, v38
	v_mov_b32_e32 v73, v70
	v_pk_add_f32 v[96:97], v[98:99], v[96:97]
	v_pk_fma_f32 v[98:99], v[60:61], s[66:67], v[102:103] op_sel:[1,0,0] neg_lo:[1,0,0] neg_hi:[1,0,0]
	ds_write2_b32 v1, v139, v138 offset0:14 offset1:15
	v_pk_fma_f32 v[138:139], v[68:69], s[24:25], v[72:73] neg_lo:[1,0,0] neg_hi:[1,0,0]
	v_mov_b32_e32 v68, v28
	v_mov_b32_e32 v69, v37
	v_pk_add_f32 v[96:97], v[98:99], v[96:97]
	v_pk_fma_f32 v[98:99], v[52:53], s[84:85], v[108:109] op_sel:[1,0,0] neg_lo:[1,0,0] neg_hi:[1,0,0]
	v_pk_mul_f32 v[72:73], v[68:69], s[2:3]
	v_pk_add_f32 v[96:97], v[98:99], v[96:97]
	v_mov_b32_e32 v141, v72
	v_mov_b32_e32 v156, v44
	;; [unrolled: 1-line block ×5, first 2 shown]
	ds_write2_b32 v1, v96, v97 offset0:4 offset1:5
	v_pk_add_f32 v[96:97], v[112:113], v[4:5] op_sel_hi:[1,0]
	v_pk_fma_f32 v[166:167], v[68:69], s[2:3], v[140:141] neg_lo:[1,0,0] neg_hi:[1,0,0]
	v_mov_b32_e32 v68, v30
	v_mov_b32_e32 v69, v55
	v_pk_mul_f32 v[142:143], v[156:157], s[12:13]
	v_pk_mul_f32 v[144:145], v[162:163], s[14:15]
	v_pk_add_f32 v[96:97], v[114:115], v[96:97]
	v_pk_fma_f32 v[118:119], v[54:55], s[96:97], v[84:85] op_sel:[1,0,0] neg_lo:[1,0,0] neg_hi:[1,0,0]
	v_pk_mul_f32 v[84:85], v[54:55], s[96:97] op_sel_hi:[0,1]
	v_pk_mul_f32 v[140:141], v[68:69], s[6:7]
	v_mov_b32_e32 v159, v142
	v_mov_b32_e32 v164, v48
	;; [unrolled: 1-line block ×4, first 2 shown]
	s_mov_b32 s96, s9
	s_mov_b32 s97, s17
	v_mov_b32_e32 v168, v50
	v_pk_add_f32 v[96:97], v[116:117], v[96:97]
	v_mov_b32_e32 v149, v140
	v_pk_mul_f32 v[146:147], v[164:165], s[96:97]
	v_pk_fma_f32 v[156:157], v[156:157], s[12:13], v[158:159] neg_lo:[1,0,0] neg_hi:[1,0,0]
	v_pk_fma_f32 v[158:159], v[162:163], s[14:15], v[168:169] neg_lo:[1,0,0] neg_hi:[1,0,0]
	v_mov_b32_e32 v169, v53
	v_pk_add_f32 v[96:97], v[118:119], v[96:97]
	v_pk_fma_f32 v[160:161], v[68:69], s[6:7], v[148:149] neg_lo:[1,0,0] neg_hi:[1,0,0]
	v_mov_b32_e32 v69, v146
	v_pk_mul_f32 v[148:149], v[168:169], s[26:27]
	v_pk_add_f32 v[96:97], v[120:121], v[96:97]
	v_pk_fma_f32 v[164:165], v[164:165], s[96:97], v[68:69] neg_lo:[1,0,0] neg_hi:[1,0,0]
	v_mov_b32_e32 v69, v148
	v_pk_add_f32 v[96:97], v[126:127], v[96:97]
	v_pk_fma_f32 v[162:163], v[168:169], s[26:27], v[68:69] neg_lo:[1,0,0] neg_hi:[1,0,0]
	v_pk_add_f32 v[96:97], v[132:133], v[96:97]
	v_mov_b32_e32 v164, v8
	v_mov_b32_e32 v162, v6
	v_pk_add_f32 v[96:97], v[150:151], v[96:97]
	v_mul_f32_e32 v6, 0x3f6eb680, v26
	v_mul_f32_e32 v8, 0x3eb8f4ab, v35
	ds_write2_b32 v1, v96, v97 offset0:6 offset1:7
	v_pk_add_f32 v[96:97], v[6:7], v[8:9] neg_lo:[0,1] neg_hi:[0,1]
	v_pk_add_f32 v[98:99], v[6:7], v[8:9]
	v_mul_f32_e32 v6, 0xbf59a7d5, v28
	v_mul_f32_e32 v8, 0xbf06c442, v37
	v_mov_b32_e32 v97, v98
	v_pk_add_f32 v[98:99], v[6:7], v[8:9] neg_lo:[0,1] neg_hi:[0,1]
	v_pk_add_f32 v[100:101], v[6:7], v[8:9]
	v_mul_f32_e32 v6, 0x3f3d2fb0, v30
	v_mul_f32_e32 v8, 0x3f2c7751, v55
	v_mov_b32_e32 v99, v100
	;; [unrolled: 5-line block ×7, first 2 shown]
	v_pk_add_f32 v[110:111], v[8:9], v[6:7] neg_lo:[0,1] neg_hi:[0,1]
	v_pk_add_f32 v[112:113], v[8:9], v[6:7]
	v_mov_b32_e32 v38, v43
	v_mov_b32_e32 v111, v112
	v_pk_add_f32 v[110:111], v[110:111], v[4:5] op_sel_hi:[1,0]
	v_add_f32_e32 v40, v41, v40
	v_pk_add_f32 v[96:97], v[96:97], v[110:111]
	v_mov_b32_e32 v41, v7
	v_pk_add_f32 v[96:97], v[98:99], v[96:97]
	v_mov_b32_e32 v69, 0x3f6eb680
	v_pk_add_f32 v[96:97], v[100:101], v[96:97]
	v_pk_add_f32 v[100:101], v[38:39], v[40:41]
	v_pk_fma_f32 v[40:41], v[26:27], s[34:35], v[80:81] op_sel:[1,0,0] neg_lo:[0,0,1] neg_hi:[0,0,1]
	v_pk_fma_f32 v[38:39], v[100:101], s[38:39], v[74:75] op_sel:[1,0,0] neg_lo:[0,0,1] neg_hi:[0,0,1]
	v_mov_b32_e32 v68, v18
	v_pk_add_f32 v[38:39], v[38:39], v[4:5] op_sel:[0,1]
	v_mul_f32_e32 v169, 0xbeb8f4ab, v33
	v_pk_add_f32 v[38:39], v[40:41], v[38:39]
	v_pk_fma_f32 v[40:41], v[28:29], s[36:37], v[82:83] op_sel:[1,0,0] neg_lo:[0,0,1] neg_hi:[0,0,1]
	v_mov_b32_e32 v168, v22
	v_pk_add_f32 v[38:39], v[40:41], v[38:39]
	v_pk_fma_f32 v[40:41], v[30:31], s[40:41], v[84:85] op_sel:[1,0,0] neg_lo:[0,0,1] neg_hi:[0,0,1]
	v_pk_add_f32 v[170:171], v[18:19], v[62:63]
	v_pk_add_f32 v[38:39], v[40:41], v[38:39]
	v_pk_fma_f32 v[40:41], v[44:45], s[42:43], v[86:87] op_sel:[1,0,0] neg_lo:[0,0,1] neg_hi:[0,0,1]
	v_pk_add_f32 v[170:171], v[170:171], v[22:23]
	v_pk_add_f32 v[38:39], v[40:41], v[38:39]
	v_pk_fma_f32 v[40:41], v[46:47], s[44:45], v[88:89] op_sel:[1,0,0] neg_lo:[0,0,1] neg_hi:[0,0,1]
	v_pk_fma_f32 v[168:169], v[68:69], v[62:63], v[168:169] neg_lo:[0,0,1] neg_hi:[0,0,1]
	v_pk_add_f32 v[38:39], v[40:41], v[38:39]
	v_pk_fma_f32 v[40:41], v[48:49], s[46:47], v[90:91] op_sel:[1,0,0] neg_lo:[0,0,1] neg_hi:[0,0,1]
	v_pk_add_f32 v[96:97], v[102:103], v[96:97]
	v_pk_add_f32 v[38:39], v[40:41], v[38:39]
	v_pk_fma_f32 v[40:41], v[50:51], s[48:49], v[92:93] op_sel:[1,0,0] neg_lo:[0,0,1] neg_hi:[0,0,1]
	v_mov_b32_e32 v171, v169
	v_pk_add_f32 v[102:103], v[40:41], v[38:39]
	v_pk_mul_f32 v[38:39], v[68:69], v[62:63]
	v_mov_b32_e32 v168, v24
	v_mov_b32_e32 v169, v4
	v_pk_fma_f32 v[122:123], v[32:33], s[74:75], v[122:123] op_sel:[1,0,0] neg_lo:[1,0,0] neg_hi:[1,0,0]
	v_fmac_f32_e32 v39, 0xbeb8f4ab, v33
	v_pk_add_f32 v[168:169], v[168:169], v[170:171]
	v_mov_b32_e32 v138, v20
	v_pk_fma_f32 v[124:125], v[34:35], s[78:79], v[124:125] op_sel:[1,0,0] neg_lo:[1,0,0] neg_hi:[1,0,0]
	v_pk_add_f32 v[122:123], v[122:123], v[4:5] op_sel_hi:[1,0]
	v_add_f32_e32 v6, v71, v70
	v_add_f32_e32 v20, v39, v4
	v_pk_add_f32 v[138:139], v[138:139], v[168:169]
	v_mov_b32_e32 v166, v16
	v_pk_add_f32 v[122:123], v[124:125], v[122:123]
	v_pk_fma_f32 v[124:125], v[36:37], s[90:91], v[128:129] op_sel:[1,0,0] neg_lo:[1,0,0] neg_hi:[1,0,0]
	v_add_f32_e32 v8, v73, v72
	v_add_f32_e32 v6, v6, v20
	v_pk_add_f32 v[166:167], v[166:167], v[138:139]
	v_mov_b32_e32 v160, v14
	v_mov_b32_e32 v158, v10
	v_pk_add_f32 v[122:123], v[124:125], v[122:123]
	v_pk_fma_f32 v[124:125], v[54:55], s[22:23], v[130:131] op_sel:[1,0,0] neg_lo:[1,0,0] neg_hi:[1,0,0]
	v_add_f32_e32 v10, v141, v140
	v_add_f32_e32 v6, v8, v6
	v_pk_add_f32 v[160:161], v[160:161], v[166:167]
	v_mov_b32_e32 v156, v12
	v_pk_add_f32 v[122:123], v[124:125], v[122:123]
	v_pk_fma_f32 v[124:125], v[56:57], s[30:31], v[134:135] op_sel:[1,0,0] neg_lo:[1,0,0] neg_hi:[1,0,0]
	v_add_f32_e32 v12, v143, v142
	v_add_f32_e32 v6, v10, v6
	v_pk_add_f32 v[156:157], v[156:157], v[160:161]
	v_pk_add_f32 v[122:123], v[124:125], v[122:123]
	v_pk_fma_f32 v[124:125], v[58:59], s[20:21], v[136:137] op_sel:[1,0,0] neg_lo:[1,0,0] neg_hi:[1,0,0]
	v_add_f32_e32 v14, v145, v144
	v_add_f32_e32 v6, v12, v6
	v_pk_add_f32 v[156:157], v[158:159], v[156:157]
	v_pk_add_f32 v[122:123], v[124:125], v[122:123]
	v_pk_fma_f32 v[124:125], v[60:61], s[18:19], v[152:153] op_sel:[1,0,0] neg_lo:[1,0,0] neg_hi:[1,0,0]
	v_pk_add_f32 v[96:97], v[104:105], v[96:97]
	v_add_f32_e32 v16, v147, v146
	v_add_f32_e32 v6, v14, v6
	v_pk_add_f32 v[156:157], v[164:165], v[156:157]
	v_pk_add_f32 v[122:123], v[124:125], v[122:123]
	v_pk_fma_f32 v[124:125], v[52:53], s[28:29], v[154:155] op_sel:[1,0,0] neg_lo:[1,0,0] neg_hi:[1,0,0]
	v_pk_add_f32 v[96:97], v[106:107], v[96:97]
	v_add_f32_e32 v18, v149, v148
	v_add_f32_e32 v6, v16, v6
	v_lshlrev_b32_e32 v106, 6, v0
	v_pk_add_f32 v[156:157], v[162:163], v[156:157]
	v_pk_add_f32 v[122:123], v[124:125], v[122:123]
	;; [unrolled: 1-line block ×3, first 2 shown]
	v_add_f32_e32 v6, v18, v6
	v_sub_u32_e32 v12, v1, v106
	ds_write2_b32 v1, v156, v157 offset1:1
	ds_write2_b32 v1, v122, v123 offset0:2 offset1:3
	ds_write2_b32 v1, v96, v97 offset0:8 offset1:9
	ds_write_b32 v1, v6 offset:64
	s_waitcnt lgkmcnt(0)
	; wave barrier
	s_waitcnt lgkmcnt(0)
	v_add_u32_e32 v14, 0x400, v12
	v_add_u32_e32 v8, 0x600, v12
	;; [unrolled: 1-line block ×3, first 2 shown]
	ds_read_b32 v6, v12 offset:3264
	ds_read2_b32 v[38:39], v12 offset1:51
	ds_read2_b32 v[98:99], v12 offset0:102 offset1:153
	ds_read2_b32 v[96:97], v12 offset0:204 offset1:255
	;; [unrolled: 1-line block ×7, first 2 shown]
	s_waitcnt lgkmcnt(0)
	; wave barrier
	s_waitcnt lgkmcnt(0)
	ds_write2_b32 v1, v103, v102 offset0:10 offset1:11
	v_pk_fma_f32 v[102:103], v[100:101], s[52:53], v[64:65] op_sel:[1,0,0] neg_lo:[0,0,1] neg_hi:[0,0,1]
	v_pk_mul_f32 v[138:139], v[36:37], s[94:95] op_sel_hi:[0,1]
	v_pk_add_f32 v[102:103], v[102:103], v[4:5] op_sel:[0,1]
	v_pk_fma_f32 v[104:105], v[26:27], s[50:51], v[66:67] op_sel:[1,0,0] neg_lo:[0,0,1] neg_hi:[0,0,1]
	v_mov_b32_e32 v68, v19
	v_pk_add_f32 v[102:103], v[104:105], v[102:103]
	v_pk_fma_f32 v[104:105], v[28:29], s[54:55], v[138:139] op_sel:[1,0,0] neg_lo:[0,0,1] neg_hi:[0,0,1]
	v_mov_b32_e32 v118, v29
	v_pk_add_f32 v[104:105], v[104:105], v[102:103]
	v_pk_mul_f32 v[102:103], v[54:55], s[88:89] op_sel_hi:[0,1]
	v_pk_fma_f32 v[108:109], v[30:31], s[56:57], v[102:103] op_sel:[1,0,0] neg_lo:[0,0,1] neg_hi:[0,0,1]
	v_mov_b32_e32 v119, v36
	v_pk_add_f32 v[108:109], v[108:109], v[104:105]
	v_pk_mul_f32 v[104:105], v[56:57], s[82:83] op_sel_hi:[0,1]
	v_pk_fma_f32 v[110:111], v[44:45], s[58:59], v[104:105] op_sel:[1,0,0] neg_lo:[0,0,1] neg_hi:[0,0,1]
	v_pk_add_f32 v[150:151], v[68:69], v[100:101]
	v_pk_add_f32 v[108:109], v[110:111], v[108:109]
	v_pk_mul_f32 v[110:111], v[58:59], s[68:69] op_sel_hi:[0,1]
	v_pk_fma_f32 v[112:113], v[46:47], s[60:61], v[110:111] op_sel:[1,0,0] neg_lo:[0,0,1] neg_hi:[0,0,1]
	v_pk_mul_f32 v[68:69], v[68:69], v[100:101]
	v_pk_add_f32 v[108:109], v[112:113], v[108:109]
	v_pk_mul_f32 v[112:113], v[60:61], s[66:67] op_sel_hi:[0,1]
	v_pk_fma_f32 v[114:115], v[48:49], s[62:63], v[112:113] op_sel:[1,0,0] neg_lo:[0,0,1] neg_hi:[0,0,1]
	v_pk_mul_f32 v[120:121], v[118:119], s[2:3]
	v_pk_add_f32 v[108:109], v[114:115], v[108:109]
	v_pk_mul_f32 v[114:115], v[52:53], s[84:85] op_sel_hi:[0,1]
	v_pk_fma_f32 v[116:117], v[50:51], s[64:65], v[114:115] op_sel:[1,0,0] neg_lo:[0,0,1] neg_hi:[0,0,1]
	v_mov_b32_e32 v122, v31
	v_pk_add_f32 v[108:109], v[116:117], v[108:109]
	ds_write2_b32 v1, v109, v108 offset0:12 offset1:13
	v_mov_b32_e32 v108, v27
	v_mov_b32_e32 v109, v34
	v_pk_mul_f32 v[116:117], v[108:109], s[24:25]
	v_mov_b32_e32 v123, v54
	v_mov_b32_e32 v107, v116
	;; [unrolled: 1-line block ×3, first 2 shown]
	v_mul_f32_e32 v23, 0xbeb8f4ab, v32
	v_mov_b32_e32 v151, v69
	v_pk_fma_f32 v[108:109], v[108:109], s[24:25], v[106:107]
	v_mov_b32_e32 v107, v120
	v_pk_mul_f32 v[124:125], v[122:123], s[6:7]
	v_mov_b32_e32 v126, v45
	v_mov_b32_e32 v127, v56
	v_mov_b32_e32 v134, v47
	v_mov_b32_e32 v135, v45
	s_mov_b32 s66, s2
	s_mov_b32 s67, s14
	v_pk_add_f32 v[22:23], v[22:23], v[150:151]
	v_mov_b32_e32 v24, v25
	v_mov_b32_e32 v25, v5
	v_pk_fma_f32 v[118:119], v[118:119], s[2:3], v[106:107]
	v_mov_b32_e32 v107, v124
	v_pk_mul_f32 v[128:129], v[126:127], s[12:13]
	v_mov_b32_e32 v130, v47
	v_mov_b32_e32 v131, v58
	v_pk_fma_f32 v[136:137], v[134:135], s[66:67], v[94:95]
	v_pk_fma_f32 v[94:95], v[134:135], s[66:67], v[94:95] neg_lo:[0,0,1] neg_hi:[0,0,1]
	v_mov_b32_e32 v134, v49
	v_mov_b32_e32 v135, v60
	v_pk_add_f32 v[22:23], v[24:25], v[22:23]
	v_mov_b32_e32 v24, v34
	v_mov_b32_e32 v25, v32
	s_mov_b32 s68, s28
	s_mov_b32 s69, s27
	v_pk_fma_f32 v[122:123], v[122:123], s[6:7], v[106:107]
	v_mov_b32_e32 v107, v128
	v_pk_mul_f32 v[132:133], v[130:131], s[14:15]
	v_pk_mul_f32 v[144:145], v[134:135], s[12:13]
	;; [unrolled: 1-line block ×3, first 2 shown]
	v_mov_b32_e32 v150, v27
	v_mov_b32_e32 v151, v101
	s_mov_b32 s68, s11
	s_mov_b32 s69, s26
	v_pk_fma_f32 v[126:127], v[126:127], s[12:13], v[106:107]
	v_mov_b32_e32 v107, v132
	v_pk_mul_f32 v[140:141], v[134:135], s[96:97]
	v_mov_b32_e32 v10, v145
	v_pk_fma_f32 v[152:153], v[150:151], s[68:69], v[24:25]
	v_pk_fma_f32 v[24:25], v[150:151], s[68:69], v[24:25] neg_lo:[0,0,1] neg_hi:[0,0,1]
	v_mov_b32_e32 v108, v21
	v_pk_fma_f32 v[130:131], v[130:131], s[14:15], v[106:107]
	v_mov_b32_e32 v107, v140
	v_pk_fma_f32 v[146:147], v[134:135], s[12:13], v[10:11]
	v_pk_add_f32 v[20:21], v[108:109], v[22:23]
	v_add_f32_e32 v10, v153, v5
	v_add_f32_e32 v16, v25, v5
	v_mov_b32_e32 v118, v17
	v_pk_fma_f32 v[142:143], v[134:135], s[96:97], v[106:107]
	v_mov_b32_e32 v107, v144
	v_mov_b32_e32 v144, v51
	;; [unrolled: 1-line block ×3, first 2 shown]
	v_add_f32_e32 v10, v152, v10
	v_add_f32_e32 v19, v24, v16
	v_pk_add_f32 v[16:17], v[118:119], v[20:21]
	v_mov_b32_e32 v122, v15
	v_pk_mul_f32 v[148:149], v[144:145], s[26:27]
	v_pk_add_f32 v[16:17], v[122:123], v[16:17]
	v_add_f32_e32 v10, v79, v10
	v_mov_b32_e32 v126, v13
	v_pk_fma_f32 v[134:135], v[134:135], s[12:13], v[106:107] neg_lo:[1,0,0] neg_hi:[1,0,0]
	v_mov_b32_e32 v107, v148
	v_add_f32_e32 v15, v78, v10
	v_add_f32_e32 v10, v77, v19
	v_pk_add_f32 v[16:17], v[126:127], v[16:17]
	v_mov_b32_e32 v130, v11
	v_pk_fma_f32 v[144:145], v[144:145], s[26:27], v[106:107]
	v_add_f32_e32 v19, v76, v10
	v_pk_add_f32 v[10:11], v[130:131], v[16:17]
	v_mov_b32_e32 v142, v9
	v_pk_add_f32 v[10:11], v[142:143], v[10:11]
	v_mov_b32_e32 v144, v7
	v_pk_add_f32 v[10:11], v[144:145], v[10:11]
	ds_write2_b32 v1, v10, v11 offset1:1
	v_pk_mul_f32 v[10:11], v[32:33], s[74:75] op_sel_hi:[0,1]
	v_pk_mul_f32 v[16:17], v[34:35], s[78:79] op_sel_hi:[0,1]
	v_pk_fma_f32 v[20:21], v[100:101], s[72:73], v[10:11] op_sel:[1,0,0]
	v_pk_fma_f32 v[22:23], v[26:27], s[70:71], v[16:17] op_sel:[1,0,0]
	v_pk_add_f32 v[20:21], v[20:21], v[4:5] op_sel:[0,1]
	v_fmac_f32_e32 v69, 0x3eb8f4ab, v32
	v_pk_add_f32 v[20:21], v[22:23], v[20:21]
	v_pk_mul_f32 v[22:23], v[36:37], s[90:91] op_sel_hi:[0,1]
	v_pk_fma_f32 v[24:25], v[28:29], s[76:77], v[22:23] op_sel:[1,0,0]
	v_add_f32_e32 v7, v137, v15
	v_pk_add_f32 v[20:21], v[24:25], v[20:21]
	v_pk_mul_f32 v[24:25], v[54:55], s[22:23] op_sel_hi:[0,1]
	v_pk_fma_f32 v[32:33], v[30:31], s[80:81], v[24:25] op_sel:[1,0,0]
	v_sub_f32_e32 v9, v120, v121
	v_pk_add_f32 v[20:21], v[32:33], v[20:21]
	v_pk_mul_f32 v[32:33], v[56:57], s[30:31] op_sel_hi:[0,1]
	v_pk_fma_f32 v[34:35], v[44:45], s[86:87], v[32:33] op_sel:[1,0,0]
	v_sub_f32_e32 v13, v124, v125
	;; [unrolled: 4-line block ×3, first 2 shown]
	v_pk_add_f32 v[20:21], v[36:37], v[20:21]
	v_pk_mul_f32 v[36:37], v[60:61], s[18:19] op_sel_hi:[0,1]
	v_pk_fma_f32 v[54:55], v[48:49], s[92:93], v[36:37] op_sel:[1,0,0]
	v_pk_fma_f32 v[10:11], v[100:101], s[72:73], v[10:11] op_sel:[1,0,0] neg_lo:[0,0,1] neg_hi:[0,0,1]
	v_pk_add_f32 v[20:21], v[54:55], v[20:21]
	v_pk_mul_f32 v[54:55], v[52:53], s[28:29] op_sel_hi:[0,1]
	v_pk_fma_f32 v[56:57], v[50:51], s[8:9], v[54:55] op_sel:[1,0,0]
	v_mul_f32_e32 v53, 0x3f7ee86f, v52
	v_pk_add_f32 v[20:21], v[56:57], v[20:21]
	v_pk_fma_f32 v[56:57], v[100:101], s[52:53], v[64:65] op_sel:[1,0,0]
	ds_write2_b32 v1, v20, v21 offset0:2 offset1:3
	v_pk_fma_f32 v[20:21], v[26:27], s[50:51], v[66:67] op_sel:[1,0,0]
	v_pk_add_f32 v[56:57], v[56:57], v[4:5] op_sel:[0,1]
	v_mov_b32_e32 v52, v146
	v_pk_add_f32 v[20:21], v[20:21], v[56:57]
	v_pk_fma_f32 v[56:57], v[28:29], s[54:55], v[138:139] op_sel:[1,0,0]
	v_mov_b32_e32 v134, v53
	v_pk_add_f32 v[20:21], v[56:57], v[20:21]
	v_pk_fma_f32 v[56:57], v[30:31], s[56:57], v[102:103] op_sel:[1,0,0]
	v_pk_fma_f32 v[16:17], v[26:27], s[70:71], v[16:17] op_sel:[1,0,0] neg_lo:[0,0,1] neg_hi:[0,0,1]
	v_pk_add_f32 v[20:21], v[56:57], v[20:21]
	v_pk_fma_f32 v[56:57], v[44:45], s[58:59], v[104:105] op_sel:[1,0,0]
	s_mov_b32 s20, s21
	v_pk_add_f32 v[20:21], v[56:57], v[20:21]
	v_pk_fma_f32 v[56:57], v[46:47], s[60:61], v[110:111] op_sel:[1,0,0]
	s_mov_b32 s21, s25
	;; [unrolled: 3-line block ×4, first 2 shown]
	v_pk_add_f32 v[20:21], v[56:57], v[20:21]
	v_pk_fma_f32 v[56:57], v[100:101], s[38:39], v[74:75] op_sel:[1,0,0]
	ds_write2_b32 v1, v20, v21 offset0:4 offset1:5
	v_pk_fma_f32 v[20:21], v[26:27], s[34:35], v[80:81] op_sel:[1,0,0]
	v_pk_add_f32 v[56:57], v[56:57], v[4:5] op_sel:[0,1]
	v_pk_fma_f32 v[26:27], v[46:47], s[10:11], v[34:35] op_sel:[1,0,0] neg_lo:[0,0,1] neg_hi:[0,0,1]
	v_pk_add_f32 v[20:21], v[20:21], v[56:57]
	v_pk_fma_f32 v[56:57], v[28:29], s[36:37], v[82:83] op_sel:[1,0,0]
	s_mov_b32 s34, s11
	v_pk_add_f32 v[20:21], v[56:57], v[20:21]
	v_pk_fma_f32 v[56:57], v[30:31], s[40:41], v[84:85] op_sel:[1,0,0]
	s_mov_b32 s35, s24
	;; [unrolled: 3-line block ×4, first 2 shown]
	v_pk_add_f32 v[20:21], v[56:57], v[20:21]
	v_pk_fma_f32 v[56:57], v[48:49], s[46:47], v[90:91] op_sel:[1,0,0]
	v_cmp_lt_u32_e32 vcc, 33, v0
	v_pk_add_f32 v[20:21], v[56:57], v[20:21]
	v_pk_fma_f32 v[56:57], v[50:51], s[48:49], v[92:93] op_sel:[1,0,0]
	s_nop 0
	v_pk_add_f32 v[20:21], v[56:57], v[20:21]
	ds_write2_b32 v1, v20, v21 offset0:6 offset1:7
	v_add_f32_e32 v20, v136, v7
	v_mul_f32_e32 v21, 0x3dbcf732, v51
	v_pk_add_f32 v[56:57], v[20:21], v[146:147]
	v_pk_add_f32 v[58:59], v[20:21], v[52:53] neg_lo:[0,1] neg_hi:[0,1]
	v_add_f32_e32 v7, v95, v19
	v_mov_b32_e32 v57, v59
	v_add_f32_e32 v59, v94, v7
	v_sub_f32_e32 v7, v116, v117
	v_add_f32_e32 v52, v69, v5
	v_add_f32_e32 v7, v7, v52
	v_mov_b32_e32 v58, v21
	v_add_f32_e32 v7, v9, v7
	v_pk_add_f32 v[20:21], v[58:59], v[134:135]
	v_add_f32_e32 v7, v13, v7
	v_pk_add_f32 v[20:21], v[20:21], v[56:57]
	v_sub_f32_e32 v19, v132, v133
	v_add_f32_e32 v7, v15, v7
	ds_write2_b32 v1, v20, v21 offset0:8 offset1:9
	v_sub_f32_e32 v20, v140, v141
	v_add_f32_e32 v7, v19, v7
	v_sub_f32_e32 v21, v148, v149
	v_add_f32_e32 v7, v20, v7
	v_pk_add_f32 v[4:5], v[10:11], v[4:5] op_sel:[0,1]
	v_add_f32_e32 v7, v21, v7
	v_pk_fma_f32 v[20:21], v[28:29], s[76:77], v[22:23] op_sel:[1,0,0] neg_lo:[0,0,1] neg_hi:[0,0,1]
	v_pk_add_f32 v[4:5], v[16:17], v[4:5]
	v_pk_fma_f32 v[22:23], v[30:31], s[80:81], v[24:25] op_sel:[1,0,0] neg_lo:[0,0,1] neg_hi:[0,0,1]
	v_pk_add_f32 v[4:5], v[20:21], v[4:5]
	;; [unrolled: 2-line block ×5, first 2 shown]
	s_movk_i32 s8, 0xf1
	v_pk_add_f32 v[4:5], v[28:29], v[4:5]
	s_nop 0
	v_pk_add_f32 v[4:5], v[30:31], v[4:5]
	ds_write2_b32 v1, v5, v4 offset0:14 offset1:15
	ds_write_b32 v1, v7 offset:64
	v_mul_lo_u16_sdwa v4, v0, s8 dst_sel:DWORD dst_unused:UNUSED_PAD src0_sel:BYTE_0 src1_sel:DWORD
	v_lshrrev_b16_e32 v10, 12, v4
	v_mul_lo_u16_e32 v4, 17, v10
	v_sub_u16_e32 v11, v0, v4
	v_mov_b32_e32 v4, 7
	v_lshlrev_b32_sdwa v4, v4, v11 dst_sel:DWORD dst_unused:UNUSED_PAD src0_sel:DWORD src1_sel:BYTE_0
	s_waitcnt lgkmcnt(0)
	; wave barrier
	s_waitcnt lgkmcnt(0)
	global_load_dwordx4 v[20:23], v4, s[4:5]
	global_load_dwordx4 v[30:33], v4, s[4:5] offset:16
	global_load_dwordx4 v[52:55], v4, s[4:5] offset:32
	;; [unrolled: 1-line block ×7, first 2 shown]
	ds_read2_b32 v[4:5], v12 offset1:51
	ds_read2_b32 v[16:17], v12 offset0:102 offset1:153
	ds_read2_b32 v[24:25], v12 offset0:204 offset1:255
	s_mov_b32 s8, s12
	v_mul_u32_u24_e32 v10, 0x484, v10
	s_waitcnt vmcnt(7) lgkmcnt(2)
	v_mul_f32_e32 v7, v5, v21
	v_mul_f32_e32 v26, v39, v21
	v_fma_f32 v28, v39, v20, -v7
	v_fmac_f32_e32 v26, v5, v20
	ds_read2_b32 v[20:21], v14 offset0:50 offset1:101
	s_waitcnt lgkmcnt(2)
	v_mul_f32_e32 v5, v16, v23
	v_fma_f32 v49, v98, v22, -v5
	s_waitcnt vmcnt(6)
	v_mul_f32_e32 v5, v17, v31
	v_fma_f32 v46, v99, v30, -v5
	s_waitcnt lgkmcnt(1)
	v_mul_f32_e32 v5, v24, v33
	v_mul_f32_e32 v50, v98, v23
	;; [unrolled: 1-line block ×3, first 2 shown]
	v_fma_f32 v37, v96, v32, -v5
	v_mul_f32_e32 v39, v96, v33
	s_waitcnt vmcnt(5)
	v_mul_f32_e32 v5, v25, v53
	v_fmac_f32_e32 v50, v16, v22
	v_fmac_f32_e32 v47, v17, v30
	;; [unrolled: 1-line block ×3, first 2 shown]
	ds_read2_b32 v[16:17], v14 offset0:152 offset1:203
	v_fma_f32 v35, v97, v52, -v5
	s_waitcnt lgkmcnt(1)
	v_mul_f32_e32 v5, v20, v55
	v_mul_f32_e32 v32, v72, v55
	s_waitcnt vmcnt(4)
	v_mul_f32_e32 v27, v73, v57
	v_fma_f32 v31, v72, v54, -v5
	v_fmac_f32_e32 v32, v20, v54
	v_mul_f32_e32 v5, v21, v57
	v_fmac_f32_e32 v27, v21, v56
	ds_read2_b32 v[20:21], v8 offset0:126 offset1:177
	ds_read2_b32 v[22:23], v18 offset0:100 offset1:151
	s_waitcnt vmcnt(3) lgkmcnt(2)
	v_mul_f32_e32 v7, v17, v65
	v_mul_f32_e32 v9, v70, v59
	v_fma_f32 v29, v71, v64, -v7
	v_mul_f32_e32 v30, v71, v65
	s_waitcnt lgkmcnt(1)
	v_mul_f32_e32 v7, v20, v67
	v_fma_f32 v13, v73, v56, -v5
	v_mul_f32_e32 v5, v16, v59
	v_fmac_f32_e32 v9, v16, v58
	v_fmac_f32_e32 v30, v17, v64
	v_fma_f32 v33, v62, v66, -v7
	ds_read2_b32 v[16:17], v18 offset0:202 offset1:253
	ds_read_b32 v7, v12 offset:3264
	s_waitcnt vmcnt(2)
	v_mul_f32_e32 v8, v21, v75
	v_fma_f32 v44, v63, v74, -v8
	s_waitcnt lgkmcnt(2)
	v_mul_f32_e32 v8, v22, v77
	v_fma_f32 v48, v42, v76, -v8
	s_waitcnt vmcnt(1)
	v_mul_f32_e32 v8, v23, v79
	v_mul_f32_e32 v36, v97, v53
	v_fma_f32 v51, v43, v78, -v8
	s_waitcnt lgkmcnt(1)
	v_mul_f32_e32 v8, v16, v81
	v_fmac_f32_e32 v36, v25, v52
	v_fma_f32 v52, v40, v80, -v8
	s_waitcnt vmcnt(0)
	v_mul_f32_e32 v8, v17, v83
	v_mul_f32_e32 v55, v6, v85
	v_fma_f32 v53, v41, v82, -v8
	s_waitcnt lgkmcnt(0)
	v_mul_f32_e32 v8, v7, v85
	v_fmac_f32_e32 v55, v7, v84
	v_fma_f32 v54, v6, v84, -v8
	v_sub_f32_e32 v8, v26, v55
	v_mul_f32_e32 v34, v62, v67
	v_mul_f32_e32 v42, v42, v77
	;; [unrolled: 1-line block ×3, first 2 shown]
	v_add_f32_e32 v6, v28, v54
	v_pk_mul_f32 v[56:57], v[8:9], s[20:21] op_sel_hi:[0,1]
	v_fma_f32 v5, v70, v58, -v5
	v_fmac_f32_e32 v34, v20, v66
	v_mul_f32_e32 v45, v63, v75
	v_fmac_f32_e32 v42, v22, v76
	v_mul_f32_e32 v43, v43, v79
	v_mul_f32_e32 v40, v40, v81
	v_fmac_f32_e32 v41, v17, v82
	v_mul_f32_e32 v15, 0xbf65296c, v8
	v_mul_f32_e32 v17, 0xbf7ee86f, v8
	;; [unrolled: 1-line block ×6, first 2 shown]
	v_pk_fma_f32 v[58:59], v[6:7], s[34:35], v[56:57] op_sel_hi:[0,1,1] neg_lo:[0,0,1] neg_hi:[0,0,1]
	v_fmac_f32_e32 v45, v21, v74
	v_fmac_f32_e32 v43, v23, v78
	;; [unrolled: 1-line block ×3, first 2 shown]
	v_fma_f32 v16, v6, s2, -v15
	v_fmac_f32_e32 v15, 0x3ee437d1, v6
	v_fma_f32 v19, v6, s6, -v17
	v_fmac_f32_e32 v17, 0x3dbcf732, v6
	;; [unrolled: 2-line block ×6, first 2 shown]
	v_pk_fma_f32 v[6:7], v[6:7], s[34:35], v[56:57] op_sel_hi:[0,1,1]
	v_add_f32_e32 v57, v38, v58
	s_mov_b32 s34, s25
	s_mov_b32 s35, s7
	v_sub_f32_e32 v56, v50, v41
	v_add_f32_e32 v64, v38, v59
	s_mov_b32 s20, s24
	s_mov_b32 s21, s6
	v_add_f32_e32 v8, v49, v53
	v_pk_mul_f32 v[58:59], v[56:57], s[34:35] op_sel_hi:[0,1]
	v_pk_fma_f32 v[60:61], v[8:9], s[20:21], v[58:59] op_sel_hi:[0,1,1] neg_lo:[0,0,1] neg_hi:[0,0,1]
	v_add_f32_e32 v65, v60, v57
	v_mul_f32_e32 v66, 0xbf4c4adb, v56
	v_mul_f32_e32 v67, 0xbe3c28d5, v56
	;; [unrolled: 1-line block ×6, first 2 shown]
	v_pk_fma_f32 v[56:57], v[8:9], s[20:21], v[58:59] op_sel_hi:[0,1,1]
	v_pk_add_f32 v[6:7], v[38:39], v[6:7] op_sel_hi:[0,1]
	v_pk_add_f32 v[6:7], v[56:57], v[6:7]
	s_mov_b32 s20, s3
	s_mov_b32 s21, s15
	v_sub_f32_e32 v56, v47, v40
	v_fma_f32 v72, v8, s14, -v66
	v_fmac_f32_e32 v66, 0xbf1a4643, v8
	v_fma_f32 v73, v8, s26, -v67
	v_fmac_f32_e32 v67, 0xbf7ba420, v8
	;; [unrolled: 2-line block ×6, first 2 shown]
	v_add_f32_e32 v8, v46, v52
	v_pk_mul_f32 v[58:59], v[56:57], s[20:21] op_sel_hi:[0,1]
	v_mul_f32_e32 v78, 0x3e3c28d5, v56
	v_mul_f32_e32 v79, 0x3f763a35, v56
	;; [unrolled: 1-line block ×6, first 2 shown]
	v_pk_fma_f32 v[56:57], v[8:9], s[66:67], v[58:59] op_sel_hi:[0,1,1]
	v_pk_add_f32 v[6:7], v[56:57], v[6:7]
	s_mov_b32 s34, s7
	s_mov_b32 s35, s27
	v_sub_f32_e32 v56, v39, v43
	v_add_f32_e32 v64, v61, v64
	v_pk_fma_f32 v[60:61], v[8:9], s[66:67], v[58:59] op_sel_hi:[0,1,1] neg_lo:[0,0,1] neg_hi:[0,0,1]
	v_fma_f32 v84, v8, s26, -v78
	v_fmac_f32_e32 v78, 0xbf7ba420, v8
	v_fma_f32 v85, v8, s12, -v79
	v_fmac_f32_e32 v79, 0xbe8c1d8e, v8
	;; [unrolled: 2-line block ×6, first 2 shown]
	s_mov_b32 s20, s6
	s_mov_b32 s21, s26
	v_add_f32_e32 v8, v37, v51
	v_pk_mul_f32 v[58:59], v[56:57], s[34:35] op_sel_hi:[0,1]
	v_mul_f32_e32 v90, 0x3f763a35, v56
	v_mul_f32_e32 v91, 0x3eb8f4ab, v56
	;; [unrolled: 1-line block ×6, first 2 shown]
	v_pk_fma_f32 v[56:57], v[8:9], s[20:21], v[58:59] op_sel_hi:[0,1,1]
	v_add_f32_e32 v65, v60, v65
	v_add_f32_e32 v64, v61, v64
	v_pk_fma_f32 v[60:61], v[8:9], s[20:21], v[58:59] op_sel_hi:[0,1,1] neg_lo:[0,0,1] neg_hi:[0,0,1]
	v_pk_add_f32 v[6:7], v[56:57], v[6:7]
	s_mov_b32 s20, s13
	s_mov_b32 s21, s30
	v_sub_f32_e32 v56, v36, v42
	v_fma_f32 v96, v8, s12, -v90
	v_fmac_f32_e32 v90, 0xbe8c1d8e, v8
	v_fma_f32 v97, v8, s11, -v91
	v_fmac_f32_e32 v91, 0x3f6eb680, v8
	;; [unrolled: 2-line block ×6, first 2 shown]
	v_add_f32_e32 v8, v35, v48
	v_pk_mul_f32 v[58:59], v[56:57], s[20:21] op_sel_hi:[0,1]
	v_mul_f32_e32 v102, 0x3f2c7751, v56
	v_mul_f32_e32 v103, 0xbf65296c, v56
	;; [unrolled: 1-line block ×6, first 2 shown]
	v_pk_fma_f32 v[56:57], v[8:9], s[8:9], v[58:59] op_sel_hi:[0,1,1]
	v_pk_add_f32 v[6:7], v[56:57], v[6:7]
	v_sub_f32_e32 v56, v32, v45
	v_add_f32_e32 v65, v60, v65
	v_add_f32_e32 v64, v61, v64
	v_pk_fma_f32 v[60:61], v[8:9], s[8:9], v[58:59] op_sel_hi:[0,1,1] neg_lo:[0,0,1] neg_hi:[0,0,1]
	v_fma_f32 v109, v8, s24, -v102
	v_fmac_f32_e32 v102, 0x3f3d2fb0, v8
	v_fma_f32 v110, v8, s2, -v103
	v_fmac_f32_e32 v103, 0x3ee437d1, v8
	;; [unrolled: 2-line block ×6, first 2 shown]
	s_mov_b32 s20, s14
	s_mov_b32 s21, s12
	v_add_f32_e32 v8, v31, v44
	v_pk_mul_f32 v[58:59], v[56:57], s[22:23] op_sel_hi:[0,1]
	v_mul_f32_e32 v115, 0xbeb8f4ab, v56
	v_mul_f32_e32 v116, 0xbf06c442, v56
	v_mul_f32_e32 v117, 0x3f7ee86f, v56
	v_mul_f32_e32 v118, 0xbf2c7751, v56
	v_mul_f32_e32 v119, 0xbe3c28d5, v56
	v_mul_f32_e32 v120, 0x3f65296c, v56
	v_pk_fma_f32 v[56:57], v[8:9], s[20:21], v[58:59] op_sel_hi:[0,1,1]
	v_pk_add_f32 v[6:7], v[56:57], v[6:7]
	v_sub_f32_e32 v56, v27, v34
	v_add_f32_e32 v65, v60, v65
	v_add_f32_e32 v64, v61, v64
	v_pk_fma_f32 v[60:61], v[8:9], s[20:21], v[58:59] op_sel_hi:[0,1,1] neg_lo:[0,0,1] neg_hi:[0,0,1]
	v_fma_f32 v121, v8, s11, -v115
	v_fmac_f32_e32 v115, 0x3f6eb680, v8
	v_fma_f32 v122, v8, s9, -v116
	v_fmac_f32_e32 v116, 0xbf59a7d5, v8
	;; [unrolled: 2-line block ×6, first 2 shown]
	s_mov_b32 s20, s9
	s_mov_b32 s21, s2
	v_add_f32_e32 v8, v13, v33
	v_pk_mul_f32 v[58:59], v[56:57], s[16:17] op_sel_hi:[0,1]
	v_mul_f32_e32 v127, 0xbf7ee86f, v56
	v_mul_f32_e32 v128, 0x3f4c4adb, v56
	;; [unrolled: 1-line block ×6, first 2 shown]
	v_pk_fma_f32 v[56:57], v[8:9], s[20:21], v[58:59] op_sel_hi:[0,1,1]
	v_pk_add_f32 v[6:7], v[56:57], v[6:7]
	s_mov_b32 s16, s27
	s_mov_b32 s17, s28
	v_sub_f32_e32 v56, v9, v30
	v_add_f32_e32 v65, v60, v65
	v_add_f32_e32 v64, v61, v64
	v_pk_fma_f32 v[60:61], v[8:9], s[20:21], v[58:59] op_sel_hi:[0,1,1] neg_lo:[0,0,1] neg_hi:[0,0,1]
	v_fma_f32 v133, v8, s6, -v127
	v_fmac_f32_e32 v127, 0x3dbcf732, v8
	v_fma_f32 v134, v8, s14, -v128
	v_fmac_f32_e32 v128, 0xbf1a4643, v8
	;; [unrolled: 2-line block ×6, first 2 shown]
	v_add_f32_e32 v8, v5, v29
	v_pk_mul_f32 v[58:59], v[56:57], s[16:17] op_sel_hi:[0,1]
	v_add_f32_e32 v65, v60, v65
	v_add_f32_e32 v64, v61, v64
	v_pk_fma_f32 v[60:61], v[8:9], s[10:11], v[58:59] op_sel_hi:[0,1,1] neg_lo:[0,0,1] neg_hi:[0,0,1]
	v_pk_fma_f32 v[58:59], v[8:9], s[10:11], v[58:59] op_sel_hi:[0,1,1]
	v_add_f32_e32 v57, v60, v65
	v_add_f32_e32 v60, v61, v64
	v_pk_add_f32 v[6:7], v[58:59], v[6:7]
	v_mul_f32_e32 v58, 0xbf06c442, v56
	v_mul_f32_e32 v59, 0x3f2c7751, v56
	;; [unrolled: 1-line block ×6, first 2 shown]
	v_fma_f32 v139, v8, s9, -v58
	v_fmac_f32_e32 v58, 0xbf59a7d5, v8
	v_fma_f32 v140, v8, s24, -v59
	v_fmac_f32_e32 v59, 0x3f3d2fb0, v8
	;; [unrolled: 2-line block ×6, first 2 shown]
	v_add_f32_e32 v8, v38, v16
	v_add_f32_e32 v15, v38, v15
	;; [unrolled: 1-line block ×77, first 2 shown]
	v_mov_b32_e32 v58, 2
	v_add_f32_e32 v38, v38, v52
	v_add_f32_e32 v16, v122, v16
	;; [unrolled: 1-line block ×12, first 2 shown]
	v_lshlrev_b32_sdwa v11, v58, v11 dst_sel:DWORD dst_unused:UNUSED_PAD src0_sel:DWORD src1_sel:BYTE_0
	v_add_f32_e32 v38, v38, v53
	v_add_f32_e32 v16, v134, v16
	v_add_f32_e32 v17, v128, v17
	v_add_f32_e32 v19, v135, v19
	v_add_f32_e32 v20, v129, v20
	v_add_f32_e32 v21, v136, v21
	v_add_f32_e32 v22, v130, v22
	v_add_f32_e32 v23, v137, v23
	v_add_f32_e32 v24, v131, v24
	v_add_f32_e32 v25, v138, v25
	v_add_f32_e32 v62, v132, v62
	v_add_f32_e32 v8, v139, v8
	v_add_f32_e32 v58, v38, v54
	v_add3_u32 v38, 0, v10, v11
	v_add_f32_e32 v16, v140, v16
	v_add_f32_e32 v17, v59, v17
	;; [unrolled: 1-line block ×10, first 2 shown]
	s_waitcnt lgkmcnt(0)
	; wave barrier
	ds_write2_b32 v38, v58, v57 offset1:17
	ds_write2_b32 v38, v60, v8 offset0:34 offset1:51
	ds_write2_b32 v38, v16, v19 offset0:68 offset1:85
	;; [unrolled: 1-line block ×7, first 2 shown]
	ds_write_b32 v38, v6 offset:1088
	v_add_u32_e32 v8, 0x200, v12
	s_waitcnt lgkmcnt(0)
	; wave barrier
	s_waitcnt lgkmcnt(0)
	ds_read2_b32 v[24:25], v12 offset1:51
	ds_read2_b32 v[10:11], v8 offset0:76 offset1:161
	ds_read2_b32 v[22:23], v18 offset0:66 offset1:117
	;; [unrolled: 1-line block ×6, first 2 shown]
	ds_read_b32 v12, v12 offset:3128
	v_sub_u32_e32 v8, 0, v106
	v_cmp_gt_u32_e64 s[2:3], 34, v0
	s_and_saveexec_b64 s[6:7], vcc
	s_xor_b64 s[6:7], exec, s[6:7]
	s_or_saveexec_b64 s[6:7], s[6:7]
	v_add_u32_e32 v1, v1, v8
                                        ; implicit-def: $vgpr8
	s_xor_b64 exec, exec, s[6:7]
	s_cbranch_execz .LBB0_13
; %bb.12:
	ds_read_b32 v7, v1 offset:1020
	ds_read_b32 v6, v1 offset:2176
	;; [unrolled: 1-line block ×3, first 2 shown]
.LBB0_13:
	s_or_b64 exec, exec, s[6:7]
	v_add_f32_e32 v56, v4, v26
	v_add_f32_e32 v56, v56, v50
	;; [unrolled: 1-line block ×14, first 2 shown]
	v_sub_f32_e32 v28, v28, v54
	v_add_f32_e32 v56, v56, v41
	v_add_f32_e32 v26, v26, v55
	v_mul_f32_e32 v54, 0xbf65296c, v28
	s_mov_b32 s8, 0x3ee437d1
	v_add_f32_e32 v57, v56, v55
	s_mov_b32 s9, 0xbf1a4643
	v_fmamk_f32 v55, v26, 0x3ee437d1, v54
	v_fma_f32 v54, v26, s8, -v54
	v_add_f32_e32 v56, v4, v54
	v_mul_f32_e32 v54, 0xbf7ee86f, v28
	s_mov_b32 s7, 0x3dbcf732
	v_fmamk_f32 v58, v26, 0x3dbcf732, v54
	v_fma_f32 v54, v26, s7, -v54
	v_add_f32_e32 v59, v4, v54
	v_mul_f32_e32 v54, 0xbf763a35, v28
	s_mov_b32 s10, 0xbe8c1d8e
	s_mov_b32 s11, 0xbf59a7d5
	v_fmamk_f32 v60, v26, 0xbe8c1d8e, v54
	v_fma_f32 v54, v26, s10, -v54
	v_add_f32_e32 v61, v4, v54
	v_mul_f32_e32 v54, 0xbf4c4adb, v28
	v_fmamk_f32 v62, v26, 0xbf1a4643, v54
	v_fma_f32 v54, v26, s9, -v54
	v_add_f32_e32 v63, v4, v54
	v_mul_f32_e32 v54, 0xbf06c442, v28
	;; [unrolled: 4-line block ×3, first 2 shown]
	s_mov_b32 s19, 0xbf7ba420
	v_fmamk_f32 v66, v26, 0xbf7ba420, v54
	v_fma_f32 v54, v26, s19, -v54
	v_add_f32_e32 v67, v4, v54
	v_sub_f32_e32 v54, v49, v53
	v_add_f32_e32 v50, v50, v41
	v_mul_f32_e32 v41, 0xbf4c4adb, v54
	v_sub_f32_e32 v46, v46, v52
	v_fmamk_f32 v49, v50, 0xbf1a4643, v41
	v_fma_f32 v41, v50, s9, -v41
	v_add_f32_e32 v40, v47, v40
	v_mul_f32_e32 v47, 0x3e3c28d5, v46
	v_add_f32_e32 v55, v4, v55
	v_add_f32_e32 v41, v41, v56
	v_mul_f32_e32 v53, 0xbe3c28d5, v54
	v_fmamk_f32 v52, v40, 0xbf7ba420, v47
	v_fma_f32 v47, v40, s19, -v47
	v_add_f32_e32 v58, v4, v58
	v_add_f32_e32 v49, v49, v55
	v_fmamk_f32 v55, v50, 0xbf7ba420, v53
	v_add_f32_e32 v41, v47, v41
	v_mul_f32_e32 v47, 0x3f763a35, v46
	v_add_f32_e32 v55, v55, v58
	v_fma_f32 v53, v50, s19, -v53
	v_mul_f32_e32 v56, 0x3f06c442, v54
	s_mov_b32 s24, 0x3f6eb680
	v_add_f32_e32 v49, v52, v49
	v_fmamk_f32 v52, v40, 0xbe8c1d8e, v47
	v_add_f32_e32 v60, v4, v60
	v_add_f32_e32 v53, v53, v59
	v_fmamk_f32 v58, v50, 0xbf59a7d5, v56
	v_fma_f32 v56, v50, s11, -v56
	s_mov_b32 s25, 0x3f3d2fb0
	v_add_f32_e32 v55, v52, v55
	v_fma_f32 v47, v40, s10, -v47
	v_mul_f32_e32 v52, 0x3f2c7751, v46
	v_add_f32_e32 v58, v58, v60
	v_add_f32_e32 v56, v56, v61
	v_mul_f32_e32 v59, 0x3f763a35, v54
	v_add_f32_e32 v47, v47, v53
	v_fmamk_f32 v53, v40, 0x3f3d2fb0, v52
	v_fma_f32 v52, v40, s25, -v52
	v_fmamk_f32 v60, v50, 0xbe8c1d8e, v59
	v_fma_f32 v59, v50, s10, -v59
	v_add_f32_e32 v53, v53, v58
	v_add_f32_e32 v58, v52, v56
	v_mul_f32_e32 v52, 0xbeb8f4ab, v46
	v_add_f32_e32 v62, v4, v62
	v_add_f32_e32 v59, v59, v63
	v_mul_f32_e32 v61, 0x3f65296c, v54
	v_fmamk_f32 v56, v40, 0x3f6eb680, v52
	v_fma_f32 v52, v40, s24, -v52
	v_add_f32_e32 v60, v60, v62
	v_fmamk_f32 v62, v50, 0x3ee437d1, v61
	v_fma_f32 v61, v50, s8, -v61
	v_add_f32_e32 v59, v52, v59
	v_mul_f32_e32 v52, 0xbf7ee86f, v46
	v_add_f32_e32 v64, v4, v64
	v_add_f32_e32 v61, v61, v65
	v_mul_f32_e32 v63, 0x3eb8f4ab, v54
	v_add_f32_e32 v60, v56, v60
	v_fmamk_f32 v56, v40, 0x3dbcf732, v52
	v_fma_f32 v52, v40, s7, -v52
	v_add_f32_e32 v66, v4, v66
	v_add_f32_e32 v62, v62, v64
	v_fmamk_f32 v64, v50, 0x3f6eb680, v63
	v_add_f32_e32 v61, v52, v61
	v_mul_f32_e32 v52, 0xbf06c442, v46
	v_add_f32_e32 v64, v64, v66
	v_fma_f32 v63, v50, s24, -v63
	v_add_f32_e32 v62, v56, v62
	v_fmamk_f32 v56, v40, 0xbf59a7d5, v52
	v_add_f32_e32 v63, v63, v67
	v_add_f32_e32 v64, v56, v64
	v_fma_f32 v52, v40, s11, -v52
	v_sub_f32_e32 v56, v37, v51
	v_add_f32_e32 v63, v52, v63
	v_add_f32_e32 v52, v39, v43
	v_mul_f32_e32 v37, 0x3f763a35, v56
	v_add_f32_e32 v36, v36, v42
	v_sub_f32_e32 v42, v35, v48
	v_fmamk_f32 v39, v52, 0xbe8c1d8e, v37
	v_fma_f32 v37, v52, s10, -v37
	v_mul_f32_e32 v35, 0x3f2c7751, v42
	v_sub_f32_e32 v44, v31, v44
	v_add_f32_e32 v37, v37, v41
	v_mul_f32_e32 v41, 0x3eb8f4ab, v56
	v_fmamk_f32 v48, v36, 0x3f3d2fb0, v35
	v_fma_f32 v35, v36, s25, -v35
	v_add_f32_e32 v32, v32, v45
	v_mul_f32_e32 v31, 0xbeb8f4ab, v44
	v_add_f32_e32 v39, v39, v49
	v_fmamk_f32 v43, v52, 0x3f6eb680, v41
	v_fma_f32 v41, v52, s24, -v41
	v_add_f32_e32 v35, v35, v37
	v_mul_f32_e32 v37, 0xbf65296c, v42
	v_fmamk_f32 v45, v32, 0x3f6eb680, v31
	v_fma_f32 v31, v32, s24, -v31
	v_add_f32_e32 v41, v41, v47
	v_mul_f32_e32 v47, 0xbf65296c, v56
	v_add_f32_e32 v39, v48, v39
	v_fmamk_f32 v48, v36, 0x3ee437d1, v37
	v_fma_f32 v37, v36, s8, -v37
	v_add_f32_e32 v31, v31, v35
	v_mul_f32_e32 v35, 0xbf06c442, v44
	v_add_f32_e32 v43, v43, v55
	;; [unrolled: 5-line block ×9, first 2 shown]
	v_fmamk_f32 v48, v32, 0x3f3d2fb0, v41
	v_fma_f32 v41, v32, s25, -v41
	v_add_f32_e32 v58, v58, v62
	v_add_f32_e32 v55, v55, v61
	v_mul_f32_e32 v59, 0x3f2c7751, v56
	v_add_f32_e32 v49, v49, v53
	v_fmamk_f32 v53, v36, 0x3f6eb680, v51
	v_fma_f32 v51, v36, s24, -v51
	v_add_f32_e32 v41, v41, v47
	v_mul_f32_e32 v47, 0xbe3c28d5, v44
	v_fmamk_f32 v60, v52, 0x3f3d2fb0, v59
	v_fma_f32 v59, v52, s25, -v59
	v_add_f32_e32 v53, v53, v58
	v_add_f32_e32 v51, v51, v55
	v_mul_f32_e32 v55, 0xbf4c4adb, v42
	v_add_f32_e32 v49, v48, v49
	v_fmamk_f32 v48, v32, 0xbf7ba420, v47
	v_add_f32_e32 v59, v59, v63
	v_fmamk_f32 v58, v36, 0xbf1a4643, v55
	v_fma_f32 v55, v36, s9, -v55
	v_add_f32_e32 v53, v48, v53
	v_fma_f32 v47, v32, s19, -v47
	v_mul_f32_e32 v48, 0x3f65296c, v44
	v_add_f32_e32 v55, v55, v59
	v_add_f32_e32 v47, v47, v51
	v_fmamk_f32 v51, v32, 0x3ee437d1, v48
	v_fma_f32 v48, v32, s8, -v48
	v_add_f32_e32 v55, v48, v55
	v_sub_f32_e32 v48, v13, v33
	v_add_f32_e32 v34, v27, v34
	v_mul_f32_e32 v13, 0xbf7ee86f, v48
	v_fmamk_f32 v27, v34, 0x3dbcf732, v13
	v_add_f32_e32 v33, v27, v39
	v_fma_f32 v13, v34, s7, -v13
	v_mul_f32_e32 v27, 0x3f4c4adb, v48
	v_add_f32_e32 v13, v13, v31
	v_fmamk_f32 v31, v34, 0xbf1a4643, v27
	v_fma_f32 v27, v34, s9, -v27
	v_add_f32_e32 v35, v27, v35
	v_mul_f32_e32 v27, 0xbeb8f4ab, v48
	v_fmamk_f32 v39, v34, 0x3f6eb680, v27
	v_fma_f32 v27, v34, s24, -v27
	v_add_f32_e32 v37, v27, v37
	v_mul_f32_e32 v27, 0xbe3c28d5, v48
	v_add_f32_e32 v31, v31, v43
	v_fmamk_f32 v43, v34, 0xbf7ba420, v27
	v_fma_f32 v27, v34, s19, -v27
	v_add_f32_e32 v41, v27, v41
	v_mul_f32_e32 v27, 0x3f2c7751, v48
	s_mov_b32 s30, 0xbeb8f4ab
	v_add_f32_e32 v60, v60, v64
	v_add_f32_e32 v39, v39, v45
	v_fmamk_f32 v45, v34, 0x3f3d2fb0, v27
	v_fma_f32 v27, v34, s25, -v27
	s_mov_b32 s31, 0xbf2c7751
	v_add_f32_e32 v58, v58, v60
	v_add_f32_e32 v47, v27, v47
	v_mul_f32_e32 v27, 0xbf763a35, v48
	v_add_f32_e32 v51, v51, v58
	v_add_f32_e32 v43, v43, v49
	v_fmamk_f32 v49, v34, 0xbe8c1d8e, v27
	v_fma_f32 v27, v34, s10, -v27
	v_sub_f32_e32 v58, v5, v29
	v_pk_mul_f32 v[28:29], v[28:29], s[30:31] op_sel_hi:[0,1]
	s_mov_b32 s23, 0xbf7ee86f
	v_add_f32_e32 v49, v49, v51
	v_add_f32_e32 v51, v27, v55
	v_pk_fma_f32 v[60:61], v[26:27], s[24:25], v[28:29] op_sel_hi:[0,1,1]
	v_pk_fma_f32 v[26:27], v[26:27], s[24:25], v[28:29] op_sel_hi:[0,1,1] neg_lo:[0,0,1] neg_hi:[0,0,1]
	s_mov_b32 s22, s31
	s_mov_b32 s12, 0xbf65296c
	v_add_f32_e32 v45, v45, v53
	v_add_f32_e32 v30, v9, v30
	;; [unrolled: 1-line block ×4, first 2 shown]
	v_pk_add_f32 v[4:5], v[4:5], v[26:27] op_sel_hi:[0,1]
	s_mov_b32 s6, s25
	v_pk_mul_f32 v[26:27], v[54:55], s[22:23] op_sel_hi:[0,1]
	s_mov_b32 s13, 0xbf4c4adb
	v_pk_fma_f32 v[28:29], v[50:51], s[6:7], v[26:27] op_sel_hi:[0,1,1]
	v_pk_fma_f32 v[26:27], v[50:51], s[6:7], v[26:27] op_sel_hi:[0,1,1] neg_lo:[0,0,1] neg_hi:[0,0,1]
	v_pk_add_f32 v[4:5], v[26:27], v[4:5]
	v_pk_mul_f32 v[26:27], v[46:47], s[12:13] op_sel_hi:[0,1]
	s_mov_b32 s15, 0xbe3c28d5
	v_add_f32_e32 v9, v28, v9
	v_add_f32_e32 v53, v29, v53
	v_pk_fma_f32 v[28:29], v[40:41], s[8:9], v[26:27] op_sel_hi:[0,1,1]
	v_pk_fma_f32 v[26:27], v[40:41], s[8:9], v[26:27] op_sel_hi:[0,1,1] neg_lo:[0,0,1] neg_hi:[0,0,1]
	s_mov_b32 s14, s23
	s_mov_b32 s20, 0xbf763a35
	v_pk_add_f32 v[4:5], v[26:27], v[4:5]
	s_mov_b32 s18, s7
	v_pk_mul_f32 v[26:27], v[56:57], s[14:15] op_sel_hi:[0,1]
	s_mov_b32 s21, 0x3f06c442
	v_add_f32_e32 v9, v28, v9
	v_add_f32_e32 v46, v29, v53
	v_pk_fma_f32 v[28:29], v[52:53], s[18:19], v[26:27] op_sel_hi:[0,1,1]
	v_pk_fma_f32 v[26:27], v[52:53], s[18:19], v[26:27] op_sel_hi:[0,1,1] neg_lo:[0,0,1] neg_hi:[0,0,1]
	v_pk_add_f32 v[4:5], v[26:27], v[4:5]
	v_pk_mul_f32 v[26:27], v[42:43], s[20:21] op_sel_hi:[0,1]
	s_mov_b32 s29, 0x3f763a35
	v_add_f32_e32 v9, v28, v9
	v_add_f32_e32 v40, v29, v46
	v_pk_fma_f32 v[28:29], v[36:37], s[10:11], v[26:27] op_sel_hi:[0,1,1]
	v_pk_fma_f32 v[26:27], v[36:37], s[10:11], v[26:27] op_sel_hi:[0,1,1] neg_lo:[0,0,1] neg_hi:[0,0,1]
	s_mov_b32 s28, s13
	s_mov_b32 s16, 0xbf06c442
	v_pk_add_f32 v[4:5], v[26:27], v[4:5]
	s_mov_b32 s20, s9
	s_mov_b32 s21, s10
	v_pk_mul_f32 v[26:27], v[44:45], s[28:29] op_sel_hi:[0,1]
	s_mov_b32 s17, 0x3f65296c
	v_add_f32_e32 v9, v28, v9
	v_add_f32_e32 v40, v29, v40
	v_pk_fma_f32 v[28:29], v[32:33], s[20:21], v[26:27] op_sel_hi:[0,1,1]
	v_pk_fma_f32 v[26:27], v[32:33], s[20:21], v[26:27] op_sel_hi:[0,1,1] neg_lo:[0,0,1] neg_hi:[0,0,1]
	v_pk_add_f32 v[4:5], v[26:27], v[4:5]
	s_mov_b32 s12, s11
	s_mov_b32 s13, s8
	v_pk_mul_f32 v[26:27], v[48:49], s[16:17] op_sel_hi:[0,1]
	s_mov_b32 s27, 0x3eb8f4ab
	v_add_f32_e32 v9, v28, v9
	v_add_f32_e32 v36, v29, v40
	v_pk_fma_f32 v[28:29], v[34:35], s[12:13], v[26:27] op_sel_hi:[0,1,1]
	v_pk_fma_f32 v[26:27], v[34:35], s[12:13], v[26:27] op_sel_hi:[0,1,1] neg_lo:[0,0,1] neg_hi:[0,0,1]
	s_mov_b32 s26, s15
	v_pk_add_f32 v[4:5], v[26:27], v[4:5]
	s_mov_b32 s12, s19
	s_mov_b32 s13, s24
	v_pk_mul_f32 v[26:27], v[58:59], s[26:27] op_sel_hi:[0,1]
	v_add_f32_e32 v9, v28, v9
	v_add_f32_e32 v32, v29, v36
	v_pk_fma_f32 v[28:29], v[30:31], s[12:13], v[26:27] op_sel_hi:[0,1,1]
	v_pk_fma_f32 v[26:27], v[30:31], s[12:13], v[26:27] op_sel_hi:[0,1,1] neg_lo:[0,0,1] neg_hi:[0,0,1]
	v_pk_add_f32 v[4:5], v[26:27], v[4:5]
	v_mul_f32_e32 v26, 0xbf06c442, v58
	v_fmamk_f32 v27, v30, 0xbf59a7d5, v26
	v_fma_f32 v26, v30, s11, -v26
	v_add_f32_e32 v13, v26, v13
	v_mul_f32_e32 v26, 0x3f2c7751, v58
	v_add_f32_e32 v9, v28, v9
	v_add_f32_e32 v28, v29, v32
	v_fmamk_f32 v29, v30, 0x3f3d2fb0, v26
	v_add_f32_e32 v29, v29, v31
	v_mul_f32_e32 v31, 0xbf4c4adb, v58
	v_fma_f32 v26, v30, s25, -v26
	v_fmamk_f32 v32, v30, 0xbf1a4643, v31
	v_fma_f32 v31, v30, s9, -v31
	v_add_f32_e32 v27, v27, v33
	v_add_f32_e32 v26, v26, v35
	;; [unrolled: 1-line block ×3, first 2 shown]
	v_mul_f32_e32 v33, 0x3f65296c, v58
	v_mul_f32_e32 v35, 0xbf763a35, v58
	;; [unrolled: 1-line block ×3, first 2 shown]
	v_add_f32_e32 v32, v32, v39
	v_fmamk_f32 v34, v30, 0x3ee437d1, v33
	v_fma_f32 v33, v30, s8, -v33
	v_fmamk_f32 v36, v30, 0xbe8c1d8e, v35
	v_fma_f32 v35, v30, s10, -v35
	;; [unrolled: 2-line block ×3, first 2 shown]
	v_add_f32_e32 v34, v34, v43
	v_add_f32_e32 v33, v33, v41
	v_add_f32_e32 v36, v36, v45
	v_add_f32_e32 v35, v35, v47
	v_add_f32_e32 v39, v39, v49
	v_add_f32_e32 v30, v30, v51
	s_waitcnt lgkmcnt(0)
	; wave barrier
	s_waitcnt lgkmcnt(0)
	ds_write2_b32 v38, v57, v9 offset1:17
	ds_write2_b32 v38, v28, v27 offset0:34 offset1:51
	ds_write2_b32 v38, v29, v32 offset0:68 offset1:85
	;; [unrolled: 1-line block ×7, first 2 shown]
	ds_write_b32 v38, v4 offset:1088
	v_add_u32_e32 v9, 0x200, v1
	s_waitcnt lgkmcnt(0)
	; wave barrier
	s_waitcnt lgkmcnt(0)
	ds_read2_b32 v[28:29], v9 offset0:76 offset1:161
	v_add_u32_e32 v9, 0x800, v1
	v_add_u32_e32 v13, 0x400, v1
	ds_read2_b32 v[40:41], v1 offset1:51
	ds_read2_b32 v[44:45], v9 offset0:66 offset1:117
	ds_read2_b32 v[42:43], v13 offset0:84 offset1:135
	;; [unrolled: 1-line block ×5, first 2 shown]
	ds_read_b32 v30, v1 offset:3128
	s_and_saveexec_b64 s[6:7], vcc
	s_xor_b64 s[6:7], exec, s[6:7]
	s_cbranch_execnz .LBB0_17
; %bb.14:
	s_or_saveexec_b64 s[6:7], s[6:7]
                                        ; implicit-def: $vgpr26
	s_xor_b64 exec, exec, s[6:7]
	s_cbranch_execnz .LBB0_18
.LBB0_15:
	s_or_b64 exec, exec, s[6:7]
	s_and_saveexec_b64 s[6:7], s[0:1]
	s_cbranch_execnz .LBB0_19
.LBB0_16:
	s_endpgm
.LBB0_17:
                                        ; implicit-def: $vgpr1
	s_or_saveexec_b64 s[6:7], s[6:7]
                                        ; implicit-def: $vgpr26
	s_xor_b64 exec, exec, s[6:7]
	s_cbranch_execz .LBB0_15
.LBB0_18:
	ds_read_b32 v5, v1 offset:1020
	ds_read_b32 v4, v1 offset:2176
	;; [unrolled: 1-line block ×3, first 2 shown]
	s_or_b64 exec, exec, s[6:7]
	s_and_saveexec_b64 s[6:7], s[0:1]
	s_cbranch_execz .LBB0_16
.LBB0_19:
	v_mov_b32_e32 v35, 0
	v_lshlrev_b32_e32 v50, 1, v0
	v_mov_b32_e32 v51, v35
	v_add_u32_e32 v9, 0xcc, v0
	v_lshl_add_u64 v[46:47], v[50:51], 3, s[4:5]
	v_lshlrev_b32_e32 v34, 1, v9
	global_load_dwordx4 v[46:49], v[46:47], off offset:2176
	v_lshl_add_u64 v[62:63], v[34:35], 3, s[4:5]
	v_add_u32_e32 v34, 0x132, v50
	v_lshl_add_u64 v[58:59], v[34:35], 3, s[4:5]
	v_add_u32_e32 v34, 0xcc, v50
	;; [unrolled: 2-line block ×3, first 2 shown]
	v_lshl_add_u64 v[64:65], v[34:35], 3, s[4:5]
	global_load_dwordx4 v[50:53], v[64:65], off offset:2176
	global_load_dwordx4 v[54:57], v[60:61], off offset:2176
	s_waitcnt lgkmcnt(7)
	v_mov_b32_e32 v34, v29
	global_load_dwordx4 v[58:61], v[58:59], off offset:2176
	v_mov_b32_e32 v66, v11
	global_load_dwordx4 v[62:65], v[62:63], off offset:2176
	v_mov_b32_e32 v68, v11
	v_mov_b32_e32 v70, v24
	s_waitcnt lgkmcnt(5)
	v_mov_b32_e32 v24, v45
	v_mov_b32_e32 v72, v23
	;; [unrolled: 1-line block ×4, first 2 shown]
	s_mov_b32 s0, 0x3f5db3d7
	s_movk_i32 s1, 0x1000
	v_mov_b32_e32 v40, v25
	s_waitcnt lgkmcnt(4)
	v_mov_b32_e32 v76, v43
	v_mov_b32_e32 v1, v35
	;; [unrolled: 1-line block ×4, first 2 shown]
	v_lshl_add_u64 v[2:3], v[0:1], 3, v[2:3]
	v_add_co_u32_e32 v84, vcc, s1, v2
	v_mov_b32_e32 v82, v16
	s_nop 0
	v_addc_co_u32_e32 v85, vcc, 0, v3, vcc
	s_waitcnt lgkmcnt(3)
	v_mov_b32_e32 v83, v36
	v_mov_b32_e32 v16, v19
	;; [unrolled: 1-line block ×4, first 2 shown]
	s_waitcnt vmcnt(4)
	v_pk_mul_f32 v[86:87], v[34:35], v[46:47] op_sel_hi:[0,1]
	v_pk_mul_f32 v[44:45], v[44:45], v[48:49] op_sel_hi:[0,1]
	v_pk_fma_f32 v[66:67], v[66:67], v[46:47], v[86:87] op_sel:[0,0,1] op_sel_hi:[1,1,0] neg_lo:[0,0,1] neg_hi:[0,0,1]
	v_pk_fma_f32 v[46:47], v[68:69], v[46:47], v[86:87] op_sel:[0,0,1] op_sel_hi:[0,1,0]
	v_pk_fma_f32 v[68:69], v[22:23], v[48:49], v[44:45] op_sel:[0,0,1] op_sel_hi:[1,1,0] neg_lo:[0,0,1] neg_hi:[0,0,1]
	v_pk_fma_f32 v[22:23], v[22:23], v[48:49], v[44:45] op_sel:[0,0,1] op_sel_hi:[0,1,0]
	v_mov_b32_e32 v67, v47
	v_mov_b32_e32 v69, v23
	v_pk_add_f32 v[22:23], v[70:71], v[66:67]
	v_pk_add_f32 v[44:45], v[66:67], v[68:69]
	v_pk_add_f32 v[46:47], v[66:67], v[68:69] neg_lo:[0,1] neg_hi:[0,1]
	s_waitcnt vmcnt(3)
	v_pk_mul_f32 v[42:43], v[42:43], v[50:51] op_sel_hi:[0,1]
	v_pk_mul_f32 v[24:25], v[24:25], v[52:53] op_sel_hi:[0,1]
	v_pk_add_f32 v[22:23], v[22:23], v[68:69]
	v_pk_fma_f32 v[44:45], v[44:45], 0.5, v[70:71] op_sel_hi:[1,0,1] neg_lo:[1,0,0] neg_hi:[1,0,0]
	v_pk_mul_f32 v[46:47], v[46:47], s[0:1] op_sel_hi:[1,0]
	v_pk_fma_f32 v[68:69], v[20:21], v[50:51], v[42:43] op_sel:[0,0,1] op_sel_hi:[1,1,0] neg_lo:[0,0,1] neg_hi:[0,0,1]
	v_pk_fma_f32 v[20:21], v[20:21], v[50:51], v[42:43] op_sel:[0,0,1] op_sel_hi:[0,1,0]
	v_pk_fma_f32 v[42:43], v[72:73], v[52:53], v[24:25] op_sel:[0,0,1] op_sel_hi:[1,1,0] neg_lo:[0,0,1] neg_hi:[0,0,1]
	v_pk_fma_f32 v[24:25], v[74:75], v[52:53], v[24:25] op_sel:[0,0,1] op_sel_hi:[0,1,0]
	global_store_dwordx2 v[2:3], v[22:23], off
	v_pk_add_f32 v[22:23], v[44:45], v[46:47] op_sel:[0,1] op_sel_hi:[1,0]
	v_pk_add_f32 v[44:45], v[44:45], v[46:47] op_sel:[0,1] op_sel_hi:[1,0] neg_lo:[0,1] neg_hi:[0,1]
	v_mov_b32_e32 v69, v21
	v_mov_b32_e32 v43, v25
	s_waitcnt vmcnt(3)
	v_pk_mul_f32 v[48:49], v[76:77], v[54:55] op_sel_hi:[0,1]
	v_mov_b32_e32 v20, v22
	v_mov_b32_e32 v21, v45
	;; [unrolled: 1-line block ×3, first 2 shown]
	v_pk_add_f32 v[22:23], v[40:41], v[68:69]
	v_pk_add_f32 v[24:25], v[68:69], v[42:43]
	v_pk_add_f32 v[46:47], v[68:69], v[42:43] neg_lo:[0,1] neg_hi:[0,1]
	s_waitcnt lgkmcnt(2)
	v_pk_mul_f32 v[66:67], v[38:39], v[56:57] op_sel_hi:[0,1]
	v_pk_fma_f32 v[50:51], v[78:79], v[54:55], v[48:49] op_sel:[0,0,1] op_sel_hi:[1,1,0] neg_lo:[0,0,1] neg_hi:[0,0,1]
	v_pk_fma_f32 v[48:49], v[80:81], v[54:55], v[48:49] op_sel:[0,0,1] op_sel_hi:[0,1,0]
	global_store_dwordx2 v[2:3], v[20:21], off offset:2312
	global_store_dwordx2 v[84:85], v[44:45], off offset:528
	v_pk_add_f32 v[20:21], v[22:23], v[42:43]
	v_pk_fma_f32 v[22:23], v[24:25], 0.5, v[40:41] op_sel_hi:[1,0,1] neg_lo:[1,0,0] neg_hi:[1,0,0]
	v_pk_mul_f32 v[24:25], v[46:47], s[0:1] op_sel_hi:[1,0]
	v_pk_fma_f32 v[52:53], v[18:19], v[56:57], v[66:67] op_sel:[0,0,1] op_sel_hi:[1,1,0] neg_lo:[0,0,1] neg_hi:[0,0,1]
	v_pk_fma_f32 v[54:55], v[18:19], v[56:57], v[66:67] op_sel:[0,0,1] op_sel_hi:[0,1,0]
	v_mov_b32_e32 v51, v49
	global_store_dwordx2 v[2:3], v[20:21], off offset:408
	v_pk_add_f32 v[20:21], v[22:23], v[24:25] op_sel:[0,1] op_sel_hi:[1,0]
	v_pk_add_f32 v[22:23], v[22:23], v[24:25] op_sel:[0,1] op_sel_hi:[1,0] neg_lo:[0,1] neg_hi:[0,1]
	v_mov_b32_e32 v53, v55
	v_pk_add_f32 v[48:49], v[82:83], v[50:51]
	v_mov_b32_e32 v24, v20
	v_mov_b32_e32 v25, v23
	;; [unrolled: 1-line block ×3, first 2 shown]
	v_pk_add_f32 v[40:41], v[48:49], v[52:53]
	global_store_dwordx2 v[2:3], v[24:25], off offset:2720
	global_store_dwordx2 v[84:85], v[22:23], off offset:936
	;; [unrolled: 1-line block ×3, first 2 shown]
	v_pk_add_f32 v[20:21], v[50:51], v[52:53]
	v_pk_add_f32 v[22:23], v[50:51], v[52:53] neg_lo:[0,1] neg_hi:[0,1]
	v_pk_fma_f32 v[20:21], v[20:21], 0.5, v[82:83] op_sel_hi:[1,0,1] neg_lo:[1,0,0] neg_hi:[1,0,0]
	v_pk_mul_f32 v[22:23], v[22:23], s[0:1] op_sel_hi:[1,0]
	s_nop 0
	v_pk_add_f32 v[24:25], v[20:21], v[22:23] op_sel:[0,1] op_sel_hi:[1,0]
	v_pk_add_f32 v[20:21], v[20:21], v[22:23] op_sel:[0,1] op_sel_hi:[1,0] neg_lo:[0,1] neg_hi:[0,1]
	v_mov_b32_e32 v22, v24
	v_mov_b32_e32 v23, v21
	;; [unrolled: 1-line block ×3, first 2 shown]
	global_store_dwordx2 v[84:85], v[20:21], off offset:1344
	s_waitcnt vmcnt(9) lgkmcnt(1)
	v_pk_mul_f32 v[20:21], v[32:33], v[58:59] op_sel_hi:[0,1]
	global_store_dwordx2 v[2:3], v[22:23], off offset:3128
	v_pk_fma_f32 v[22:23], v[14:15], v[58:59], v[20:21] op_sel:[0,0,1] op_sel_hi:[1,1,0] neg_lo:[0,0,1] neg_hi:[0,0,1]
	v_pk_fma_f32 v[20:21], v[14:15], v[58:59], v[20:21] op_sel:[0,0,1] op_sel_hi:[0,1,0]
	v_mov_b32_e32 v14, v39
	v_mov_b32_e32 v23, v21
	v_pk_mul_f32 v[20:21], v[14:15], v[60:61] op_sel_hi:[0,1]
	v_mov_b32_e32 v14, v19
	v_pk_fma_f32 v[18:19], v[14:15], v[60:61], v[20:21] op_sel:[0,0,1] op_sel_hi:[1,1,0] neg_lo:[0,0,1] neg_hi:[0,0,1]
	v_pk_fma_f32 v[20:21], v[16:17], v[60:61], v[20:21] op_sel:[0,0,1] op_sel_hi:[0,1,0]
	v_mov_b32_e32 v19, v21
	v_pk_add_f32 v[16:17], v[36:37], v[22:23]
	v_mov_b32_e32 v14, v33
	v_pk_add_f32 v[16:17], v[16:17], v[18:19]
	global_store_dwordx2 v[2:3], v[16:17], off offset:1224
	v_pk_add_f32 v[16:17], v[22:23], v[18:19]
	v_pk_add_f32 v[18:19], v[22:23], v[18:19] neg_lo:[0,1] neg_hi:[0,1]
	v_pk_fma_f32 v[16:17], v[16:17], 0.5, v[36:37] op_sel_hi:[1,0,1] neg_lo:[1,0,0] neg_hi:[1,0,0]
	v_pk_mul_f32 v[18:19], v[18:19], s[0:1] op_sel_hi:[1,0]
	s_mov_b32 s1, 0xe2c4a689
	v_pk_add_f32 v[20:21], v[16:17], v[18:19] op_sel:[0,1] op_sel_hi:[1,0]
	v_pk_add_f32 v[16:17], v[16:17], v[18:19] op_sel:[0,1] op_sel_hi:[1,0] neg_lo:[0,1] neg_hi:[0,1]
	v_mov_b32_e32 v18, v20
	v_mov_b32_e32 v19, v17
	global_store_dwordx2 v[2:3], v[18:19], off offset:3536
	s_waitcnt vmcnt(11)
	v_pk_mul_f32 v[18:19], v[14:15], v[62:63] op_sel_hi:[0,1]
	v_mov_b32_e32 v14, v15
	v_mov_b32_e32 v20, v15
	v_pk_fma_f32 v[14:15], v[14:15], v[62:63], v[18:19] op_sel:[0,0,1] op_sel_hi:[1,1,0] neg_lo:[0,0,1] neg_hi:[0,0,1]
	v_pk_fma_f32 v[18:19], v[20:21], v[62:63], v[18:19] op_sel:[0,0,1] op_sel_hi:[0,1,0]
	v_mul_hi_u32 v1, v9, s1
	v_mov_b32_e32 v15, v19
	s_waitcnt lgkmcnt(0)
	v_pk_mul_f32 v[18:19], v[30:31], v[64:65] op_sel_hi:[0,1]
	v_mov_b32_e32 v17, v21
	v_lshrrev_b32_e32 v1, 8, v1
	v_pk_fma_f32 v[20:21], v[12:13], v[64:65], v[18:19] op_sel:[0,0,1] op_sel_hi:[1,1,0] neg_lo:[0,0,1] neg_hi:[0,0,1]
	v_pk_fma_f32 v[12:13], v[12:13], v[64:65], v[18:19] op_sel:[0,0,1] op_sel_hi:[0,1,0]
	v_mul_u32_u24_e32 v34, 0x242, v1
	v_mov_b32_e32 v21, v13
	v_pk_add_f32 v[12:13], v[10:11], v[14:15]
	global_store_dwordx2 v[84:85], v[16:17], off offset:1752
	v_lshl_add_u64 v[16:17], v[34:35], 3, v[2:3]
	v_pk_add_f32 v[12:13], v[12:13], v[20:21]
	global_store_dwordx2 v[16:17], v[12:13], off offset:1632
	v_pk_add_f32 v[12:13], v[14:15], v[20:21]
	s_nop 0
	v_pk_fma_f32 v[10:11], v[12:13], 0.5, v[10:11] op_sel_hi:[1,0,1] neg_lo:[1,0,0] neg_hi:[1,0,0]
	v_pk_add_f32 v[12:13], v[14:15], v[20:21] neg_lo:[0,1] neg_hi:[0,1]
	s_nop 0
	v_pk_mul_f32 v[12:13], v[12:13], s[0:1] op_sel_hi:[1,0]
	s_nop 0
	v_pk_add_f32 v[14:15], v[10:11], v[12:13] op_sel:[0,1] op_sel_hi:[1,0]
	v_pk_add_f32 v[10:11], v[10:11], v[12:13] op_sel:[0,1] op_sel_hi:[1,0] neg_lo:[0,1] neg_hi:[0,1]
	v_mov_b32_e32 v12, v14
	v_mov_b32_e32 v13, v11
	global_store_dwordx2 v[16:17], v[12:13], off offset:3944
	v_add_co_u32_e32 v12, vcc, 0x1000, v16
	v_mov_b32_e32 v11, v15
	s_nop 0
	v_addc_co_u32_e32 v13, vcc, 0, v17, vcc
	global_store_dwordx2 v[12:13], v[10:11], off offset:2160
	s_and_b64 exec, exec, s[2:3]
	s_cbranch_execz .LBB0_16
; %bb.20:
	v_not_b32_e32 v1, 33
	v_mov_b32_e32 v9, 0xff
	v_cndmask_b32_e64 v1, v1, v9, s[2:3]
	v_add_lshl_u32 v34, v0, v1, 1
	v_lshl_add_u64 v[0:1], v[34:35], 3, s[4:5]
	global_load_dwordx4 v[10:13], v[0:1], off offset:2176
	v_add_co_u32_e32 v0, vcc, 0x1000, v2
	s_waitcnt vmcnt(0)
	v_pk_mul_f32 v[14:15], v[4:5], v[10:11] op_sel_hi:[0,1]
	v_pk_mul_f32 v[16:17], v[26:27], v[12:13] op_sel_hi:[0,1]
	v_mov_b32_e32 v4, v7
	v_pk_fma_f32 v[18:19], v[6:7], v[10:11], v[14:15] op_sel:[0,0,1] op_sel_hi:[1,1,0] neg_lo:[0,0,1] neg_hi:[0,0,1]
	v_pk_fma_f32 v[6:7], v[6:7], v[10:11], v[14:15] op_sel:[0,0,1] op_sel_hi:[0,1,0]
	v_pk_fma_f32 v[10:11], v[8:9], v[12:13], v[16:17] op_sel:[0,0,1] op_sel_hi:[1,1,0] neg_lo:[0,0,1] neg_hi:[0,0,1]
	v_pk_fma_f32 v[8:9], v[8:9], v[12:13], v[16:17] op_sel:[0,0,1] op_sel_hi:[0,1,0]
	v_mov_b32_e32 v19, v7
	v_mov_b32_e32 v11, v9
	v_pk_add_f32 v[8:9], v[18:19], v[10:11]
	v_pk_add_f32 v[12:13], v[18:19], v[10:11] neg_lo:[0,1] neg_hi:[0,1]
	v_pk_add_f32 v[6:7], v[4:5], v[18:19]
	v_pk_fma_f32 v[4:5], -0.5, v[8:9], v[4:5] op_sel_hi:[0,1,1]
	v_pk_mul_f32 v[8:9], v[12:13], s[0:1] op_sel_hi:[1,0]
	v_pk_add_f32 v[6:7], v[6:7], v[10:11]
	v_pk_add_f32 v[10:11], v[4:5], v[8:9] op_sel:[0,1] op_sel_hi:[1,0]
	v_pk_add_f32 v[4:5], v[4:5], v[8:9] op_sel:[0,1] op_sel_hi:[1,0] neg_lo:[0,1] neg_hi:[0,1]
	v_addc_co_u32_e32 v1, vcc, 0, v3, vcc
	global_store_dwordx2 v[2:3], v[6:7], off offset:2040
	v_mov_b32_e32 v2, v10
	v_mov_b32_e32 v3, v5
	v_mov_b32_e32 v5, v11
	global_store_dwordx2 v[0:1], v[2:3], off offset:256
	global_store_dwordx2 v[0:1], v[4:5], off offset:2568
	s_endpgm
	.section	.rodata,"a",@progbits
	.p2align	6, 0x0
	.amdhsa_kernel fft_rtc_fwd_len867_factors_17_17_3_wgs_51_tpt_51_halfLds_sp_ip_CI_unitstride_sbrr_dirReg
		.amdhsa_group_segment_fixed_size 0
		.amdhsa_private_segment_fixed_size 0
		.amdhsa_kernarg_size 88
		.amdhsa_user_sgpr_count 2
		.amdhsa_user_sgpr_dispatch_ptr 0
		.amdhsa_user_sgpr_queue_ptr 0
		.amdhsa_user_sgpr_kernarg_segment_ptr 1
		.amdhsa_user_sgpr_dispatch_id 0
		.amdhsa_user_sgpr_kernarg_preload_length 0
		.amdhsa_user_sgpr_kernarg_preload_offset 0
		.amdhsa_user_sgpr_private_segment_size 0
		.amdhsa_uses_dynamic_stack 0
		.amdhsa_enable_private_segment 0
		.amdhsa_system_sgpr_workgroup_id_x 1
		.amdhsa_system_sgpr_workgroup_id_y 0
		.amdhsa_system_sgpr_workgroup_id_z 0
		.amdhsa_system_sgpr_workgroup_info 0
		.amdhsa_system_vgpr_workitem_id 0
		.amdhsa_next_free_vgpr 172
		.amdhsa_next_free_sgpr 98
		.amdhsa_accum_offset 172
		.amdhsa_reserve_vcc 1
		.amdhsa_float_round_mode_32 0
		.amdhsa_float_round_mode_16_64 0
		.amdhsa_float_denorm_mode_32 3
		.amdhsa_float_denorm_mode_16_64 3
		.amdhsa_dx10_clamp 1
		.amdhsa_ieee_mode 1
		.amdhsa_fp16_overflow 0
		.amdhsa_tg_split 0
		.amdhsa_exception_fp_ieee_invalid_op 0
		.amdhsa_exception_fp_denorm_src 0
		.amdhsa_exception_fp_ieee_div_zero 0
		.amdhsa_exception_fp_ieee_overflow 0
		.amdhsa_exception_fp_ieee_underflow 0
		.amdhsa_exception_fp_ieee_inexact 0
		.amdhsa_exception_int_div_zero 0
	.end_amdhsa_kernel
	.text
.Lfunc_end0:
	.size	fft_rtc_fwd_len867_factors_17_17_3_wgs_51_tpt_51_halfLds_sp_ip_CI_unitstride_sbrr_dirReg, .Lfunc_end0-fft_rtc_fwd_len867_factors_17_17_3_wgs_51_tpt_51_halfLds_sp_ip_CI_unitstride_sbrr_dirReg
                                        ; -- End function
	.section	.AMDGPU.csdata,"",@progbits
; Kernel info:
; codeLenInByte = 12552
; NumSgprs: 104
; NumVgprs: 172
; NumAgprs: 0
; TotalNumVgprs: 172
; ScratchSize: 0
; MemoryBound: 0
; FloatMode: 240
; IeeeMode: 1
; LDSByteSize: 0 bytes/workgroup (compile time only)
; SGPRBlocks: 12
; VGPRBlocks: 21
; NumSGPRsForWavesPerEU: 104
; NumVGPRsForWavesPerEU: 172
; AccumOffset: 172
; Occupancy: 2
; WaveLimiterHint : 1
; COMPUTE_PGM_RSRC2:SCRATCH_EN: 0
; COMPUTE_PGM_RSRC2:USER_SGPR: 2
; COMPUTE_PGM_RSRC2:TRAP_HANDLER: 0
; COMPUTE_PGM_RSRC2:TGID_X_EN: 1
; COMPUTE_PGM_RSRC2:TGID_Y_EN: 0
; COMPUTE_PGM_RSRC2:TGID_Z_EN: 0
; COMPUTE_PGM_RSRC2:TIDIG_COMP_CNT: 0
; COMPUTE_PGM_RSRC3_GFX90A:ACCUM_OFFSET: 42
; COMPUTE_PGM_RSRC3_GFX90A:TG_SPLIT: 0
	.text
	.p2alignl 6, 3212836864
	.fill 256, 4, 3212836864
	.type	__hip_cuid_f98db254301fec4a,@object ; @__hip_cuid_f98db254301fec4a
	.section	.bss,"aw",@nobits
	.globl	__hip_cuid_f98db254301fec4a
__hip_cuid_f98db254301fec4a:
	.byte	0                               ; 0x0
	.size	__hip_cuid_f98db254301fec4a, 1

	.ident	"AMD clang version 19.0.0git (https://github.com/RadeonOpenCompute/llvm-project roc-6.4.0 25133 c7fe45cf4b819c5991fe208aaa96edf142730f1d)"
	.section	".note.GNU-stack","",@progbits
	.addrsig
	.addrsig_sym __hip_cuid_f98db254301fec4a
	.amdgpu_metadata
---
amdhsa.kernels:
  - .agpr_count:     0
    .args:
      - .actual_access:  read_only
        .address_space:  global
        .offset:         0
        .size:           8
        .value_kind:     global_buffer
      - .offset:         8
        .size:           8
        .value_kind:     by_value
      - .actual_access:  read_only
        .address_space:  global
        .offset:         16
        .size:           8
        .value_kind:     global_buffer
      - .actual_access:  read_only
        .address_space:  global
        .offset:         24
        .size:           8
        .value_kind:     global_buffer
      - .offset:         32
        .size:           8
        .value_kind:     by_value
      - .actual_access:  read_only
        .address_space:  global
        .offset:         40
        .size:           8
        .value_kind:     global_buffer
      - .actual_access:  read_only
        .address_space:  global
        .offset:         48
        .size:           8
        .value_kind:     global_buffer
      - .offset:         56
        .size:           4
        .value_kind:     by_value
      - .actual_access:  read_only
        .address_space:  global
        .offset:         64
        .size:           8
        .value_kind:     global_buffer
      - .actual_access:  read_only
        .address_space:  global
        .offset:         72
        .size:           8
        .value_kind:     global_buffer
      - .address_space:  global
        .offset:         80
        .size:           8
        .value_kind:     global_buffer
    .group_segment_fixed_size: 0
    .kernarg_segment_align: 8
    .kernarg_segment_size: 88
    .language:       OpenCL C
    .language_version:
      - 2
      - 0
    .max_flat_workgroup_size: 51
    .name:           fft_rtc_fwd_len867_factors_17_17_3_wgs_51_tpt_51_halfLds_sp_ip_CI_unitstride_sbrr_dirReg
    .private_segment_fixed_size: 0
    .sgpr_count:     104
    .sgpr_spill_count: 0
    .symbol:         fft_rtc_fwd_len867_factors_17_17_3_wgs_51_tpt_51_halfLds_sp_ip_CI_unitstride_sbrr_dirReg.kd
    .uniform_work_group_size: 1
    .uses_dynamic_stack: false
    .vgpr_count:     172
    .vgpr_spill_count: 0
    .wavefront_size: 64
amdhsa.target:   amdgcn-amd-amdhsa--gfx950
amdhsa.version:
  - 1
  - 2
...

	.end_amdgpu_metadata
